;; amdgpu-corpus repo=ROCm/rocSPARSE kind=compiled arch=gfx1030 opt=O3
	.amdgcn_target "amdgcn-amd-amdhsa--gfx1030"
	.amdhsa_code_object_version 6
	.section	.text._ZN9rocsparseL12csrsv_kernelILj1024ELj64ELb1EiifEEvT3_NS_24const_host_device_scalarIT4_EEPKT2_PKS1_PKS3_SB_lPS3_PiS9_iPS1_21rocsparse_index_base_20rocsparse_fill_mode_20rocsparse_diag_type_b,"axG",@progbits,_ZN9rocsparseL12csrsv_kernelILj1024ELj64ELb1EiifEEvT3_NS_24const_host_device_scalarIT4_EEPKT2_PKS1_PKS3_SB_lPS3_PiS9_iPS1_21rocsparse_index_base_20rocsparse_fill_mode_20rocsparse_diag_type_b,comdat
	.globl	_ZN9rocsparseL12csrsv_kernelILj1024ELj64ELb1EiifEEvT3_NS_24const_host_device_scalarIT4_EEPKT2_PKS1_PKS3_SB_lPS3_PiS9_iPS1_21rocsparse_index_base_20rocsparse_fill_mode_20rocsparse_diag_type_b ; -- Begin function _ZN9rocsparseL12csrsv_kernelILj1024ELj64ELb1EiifEEvT3_NS_24const_host_device_scalarIT4_EEPKT2_PKS1_PKS3_SB_lPS3_PiS9_iPS1_21rocsparse_index_base_20rocsparse_fill_mode_20rocsparse_diag_type_b
	.p2align	8
	.type	_ZN9rocsparseL12csrsv_kernelILj1024ELj64ELb1EiifEEvT3_NS_24const_host_device_scalarIT4_EEPKT2_PKS1_PKS3_SB_lPS3_PiS9_iPS1_21rocsparse_index_base_20rocsparse_fill_mode_20rocsparse_diag_type_b,@function
_ZN9rocsparseL12csrsv_kernelILj1024ELj64ELb1EiifEEvT3_NS_24const_host_device_scalarIT4_EEPKT2_PKS1_PKS3_SB_lPS3_PiS9_iPS1_21rocsparse_index_base_20rocsparse_fill_mode_20rocsparse_diag_type_b: ; @_ZN9rocsparseL12csrsv_kernelILj1024ELj64ELb1EiifEEvT3_NS_24const_host_device_scalarIT4_EEPKT2_PKS1_PKS3_SB_lPS3_PiS9_iPS1_21rocsparse_index_base_20rocsparse_fill_mode_20rocsparse_diag_type_b
; %bb.0:
	s_clause 0x1
	s_load_dwordx4 s[8:11], s[4:5], 0x60
	s_load_dwordx2 s[0:1], s[4:5], 0x8
	s_waitcnt lgkmcnt(0)
	s_bitcmp1_b32 s11, 0
	s_cselect_b32 s2, -1, 0
	s_and_b32 vcc_lo, exec_lo, s2
	s_cbranch_vccnz .LBB0_2
; %bb.1:
	s_load_dword s0, s[0:1], 0x0
.LBB0_2:
	s_load_dword s2, s[4:5], 0x0
	v_readfirstlane_b32 s1, v0
	s_lshr_b32 s11, s1, 6
	s_lshl_b32 s1, s6, 4
	s_add_i32 s1, s11, s1
	s_waitcnt lgkmcnt(0)
	s_cmp_ge_i32 s1, s2
	s_cbranch_scc1 .LBB0_49
; %bb.3:
	s_clause 0x2
	s_load_dword s6, s[4:5], 0x50
	s_load_dwordx2 s[2:3], s[4:5], 0x48
	s_load_dwordx4 s[12:15], s[4:5], 0x38
	v_and_b32_e32 v5, 63, v0
	v_mov_b32_e32 v6, 0
	s_waitcnt lgkmcnt(0)
	s_add_i32 s6, s1, s6
	s_mov_b32 s1, exec_lo
	s_ashr_i32 s7, s6, 31
	s_lshl_b64 s[6:7], s[6:7], 2
	s_add_u32 s2, s2, s6
	s_addc_u32 s3, s3, s7
	s_load_dword s16, s[2:3], 0x0
	s_load_dwordx2 s[6:7], s[4:5], 0x10
	s_waitcnt lgkmcnt(0)
	s_ashr_i32 s17, s16, 31
	s_lshl_b64 s[2:3], s[16:17], 2
	s_add_u32 s6, s6, s2
	s_addc_u32 s7, s7, s3
	s_load_dwordx2 s[6:7], s[6:7], 0x0
	v_cmpx_eq_u32_e32 0, v5
	s_cbranch_execz .LBB0_5
; %bb.4:
	s_load_dwordx4 s[20:23], s[4:5], 0x28
	s_waitcnt lgkmcnt(0)
	s_mul_i32 s17, s22, s17
	s_mul_hi_u32 s18, s22, s16
	s_mul_i32 s19, s23, s16
	s_add_i32 s17, s18, s17
	s_mul_i32 s18, s22, s16
	s_add_i32 s19, s17, s19
	s_lshl_b64 s[18:19], s[18:19], 2
	s_add_u32 s18, s20, s18
	s_addc_u32 s19, s21, s19
	s_load_dword s17, s[18:19], 0x0
	s_waitcnt lgkmcnt(0)
	v_mul_f32_e64 v6, s0, s17
.LBB0_5:
	s_or_b32 exec_lo, exec_lo, s1
	v_subrev_nc_u32_e32 v0, s8, v5
	s_waitcnt lgkmcnt(0)
	s_sub_i32 s20, s7, s8
	s_mov_b32 s17, exec_lo
	v_add_nc_u32_e32 v0, s6, v0
	v_cmpx_gt_i32_e64 s20, v0
	s_cbranch_execz .LBB0_45
; %bb.6:
	s_clause 0x1
	s_load_dwordx2 s[18:19], s[4:5], 0x58
	s_load_dwordx4 s[4:7], s[4:5], 0x18
	v_mov_b32_e32 v7, 0
	s_cmp_eq_u32 s10, 0
	s_mov_b32 s22, 0
	s_cselect_b32 s21, -1, 0
	s_add_i32 s23, s16, s8
	s_lshl_b32 s24, s11, 2
	s_branch .LBB0_8
.LBB0_7:                                ;   in Loop: Header=BB0_8 Depth=1
	s_or_b32 exec_lo, exec_lo, s25
	s_and_b32 s0, exec_lo, s0
	s_or_b32 s22, s0, s22
	s_andn2_b32 exec_lo, exec_lo, s22
	s_cbranch_execz .LBB0_44
.LBB0_8:                                ; =>This Loop Header: Depth=1
                                        ;     Child Loop BB0_26 Depth 2
                                        ;       Child Loop BB0_27 Depth 3
	v_ashrrev_i32_e32 v1, 31, v0
	v_lshlrev_b64 v[1:2], 2, v[0:1]
	s_waitcnt lgkmcnt(0)
	v_add_co_u32 v3, vcc_lo, s4, v1
	v_add_co_ci_u32_e64 v4, null, s5, v2, vcc_lo
	v_add_co_u32 v1, vcc_lo, s6, v1
	v_add_co_ci_u32_e64 v2, null, s7, v2, vcc_lo
	global_load_dword v3, v[3:4], off slc
	global_load_dword v8, v[1:2], off slc
	s_waitcnt vmcnt(1)
	v_subrev_nc_u32_e32 v1, s8, v3
	s_waitcnt vmcnt(0)
	v_cmp_eq_f32_e64 s1, 0, v8
	v_cmp_eq_u32_e32 vcc_lo, s16, v1
	v_cmp_ne_u32_e64 s0, s16, v1
	s_and_b32 s25, s21, vcc_lo
	s_and_b32 s1, s1, s25
	s_and_saveexec_b32 s25, s1
	s_cbranch_execz .LBB0_12
; %bb.9:                                ;   in Loop: Header=BB0_8 Depth=1
	v_mbcnt_lo_u32_b32 v2, exec_lo, 0
	s_mov_b32 s26, exec_lo
	v_cmpx_eq_u32_e32 0, v2
	s_cbranch_execz .LBB0_11
; %bb.10:                               ;   in Loop: Header=BB0_8 Depth=1
	v_mov_b32_e32 v2, s23
	global_atomic_smin v7, v2, s[18:19]
.LBB0_11:                               ;   in Loop: Header=BB0_8 Depth=1
	s_or_b32 exec_lo, exec_lo, s26
	v_mov_b32_e32 v8, 1.0
.LBB0_12:                               ;   in Loop: Header=BB0_8 Depth=1
	s_or_b32 exec_lo, exec_lo, s25
	s_mov_b32 s1, -1
	s_mov_b32 s25, 0
	s_cmp_lt_i32 s9, 1
	s_mov_b32 s26, 0
	s_cbranch_scc1 .LBB0_28
; %bb.13:                               ;   in Loop: Header=BB0_8 Depth=1
	s_cmp_eq_u32 s9, 1
	s_mov_b32 s26, -1
	s_cbranch_scc0 .LBB0_21
; %bb.14:                               ;   in Loop: Header=BB0_8 Depth=1
	s_mov_b32 s26, 0
	s_mov_b32 s27, exec_lo
	v_cmpx_le_i32_e64 s16, v1
	s_cbranch_execz .LBB0_20
; %bb.15:                               ;   in Loop: Header=BB0_8 Depth=1
	s_mov_b32 s26, -1
	s_and_saveexec_b32 s1, vcc_lo
	s_xor_b32 s1, exec_lo, s1
	s_cbranch_execz .LBB0_19
; %bb.16:                               ;   in Loop: Header=BB0_8 Depth=1
	s_andn2_b32 vcc_lo, exec_lo, s21
	s_cbranch_vccnz .LBB0_18
; %bb.17:                               ;   in Loop: Header=BB0_8 Depth=1
	v_div_scale_f32 v2, null, v8, v8, 1.0
	v_div_scale_f32 v9, vcc_lo, 1.0, v8, 1.0
	v_rcp_f32_e32 v3, v2
	v_fma_f32 v4, -v2, v3, 1.0
	v_fmac_f32_e32 v3, v4, v3
	v_mul_f32_e32 v4, v9, v3
	v_fma_f32 v10, -v2, v4, v9
	v_fmac_f32_e32 v4, v10, v3
	v_fma_f32 v2, -v2, v4, v9
	v_div_fmas_f32 v2, v2, v3, v4
	v_mov_b32_e32 v3, s24
	v_div_fixup_f32 v2, v2, v8, 1.0
	ds_write_b32 v3, v2
.LBB0_18:                               ;   in Loop: Header=BB0_8 Depth=1
	s_xor_b32 s26, exec_lo, -1
.LBB0_19:                               ;   in Loop: Header=BB0_8 Depth=1
	s_or_b32 exec_lo, exec_lo, s1
	s_and_b32 s26, s26, exec_lo
.LBB0_20:                               ;   in Loop: Header=BB0_8 Depth=1
	s_or_b32 exec_lo, exec_lo, s27
.LBB0_21:                               ;   in Loop: Header=BB0_8 Depth=1
	s_mov_b32 s1, 4
.LBB0_22:                               ;   in Loop: Header=BB0_8 Depth=1
	v_mov_b32_e32 v2, s1
	v_mov_b32_e32 v3, v6
	s_and_saveexec_b32 s0, s26
	s_cbranch_execz .LBB0_36
.LBB0_23:                               ;   in Loop: Header=BB0_8 Depth=1
	v_ashrrev_i32_e32 v2, 31, v1
	s_mov_b32 s1, exec_lo
	v_lshlrev_b64 v[1:2], 2, v[1:2]
	v_add_co_u32 v3, vcc_lo, s14, v1
	v_add_co_ci_u32_e64 v4, null, s15, v2, vcc_lo
	global_load_dword v9, v[3:4], off glc dlc
	s_waitcnt vmcnt(0)
	v_cmpx_eq_u32_e32 0, v9
	s_cbranch_execz .LBB0_31
; %bb.24:                               ;   in Loop: Header=BB0_8 Depth=1
	s_mov_b32 s26, 0
	s_mov_b32 s27, 0
	s_branch .LBB0_26
	.p2align	6
.LBB0_25:                               ;   in Loop: Header=BB0_26 Depth=2
	global_load_dword v9, v[3:4], off glc dlc
	s_cmpk_lt_u32 s27, 0xf43
	s_cselect_b32 s28, -1, 0
	s_cmp_lg_u32 s28, 0
	s_addc_u32 s27, s27, 0
	s_waitcnt vmcnt(0)
	v_cmp_ne_u32_e32 vcc_lo, 0, v9
	s_or_b32 s26, vcc_lo, s26
	s_andn2_b32 exec_lo, exec_lo, s26
	s_cbranch_execz .LBB0_31
.LBB0_26:                               ;   Parent Loop BB0_8 Depth=1
                                        ; =>  This Loop Header: Depth=2
                                        ;       Child Loop BB0_27 Depth 3
	s_cmp_eq_u32 s27, 0
	s_mov_b32 s28, s27
	s_cbranch_scc1 .LBB0_25
.LBB0_27:                               ;   Parent Loop BB0_8 Depth=1
                                        ;     Parent Loop BB0_26 Depth=2
                                        ; =>    This Inner Loop Header: Depth=3
	s_add_i32 s28, s28, -1
	s_sleep 1
	s_cmp_eq_u32 s28, 0
	s_cbranch_scc0 .LBB0_27
	s_branch .LBB0_25
.LBB0_28:                               ;   in Loop: Header=BB0_8 Depth=1
	s_and_b32 vcc_lo, exec_lo, s1
	s_mov_b32 s1, 4
	s_cbranch_vccz .LBB0_22
; %bb.29:                               ;   in Loop: Header=BB0_8 Depth=1
	s_cmp_eq_u32 s9, 0
	s_cbranch_scc1 .LBB0_32
; %bb.30:                               ;   in Loop: Header=BB0_8 Depth=1
	s_mov_b32 s26, -1
	s_branch .LBB0_35
.LBB0_31:                               ;   in Loop: Header=BB0_8 Depth=1
	s_or_b32 exec_lo, exec_lo, s1
	v_add_co_u32 v1, vcc_lo, s12, v1
	v_add_co_ci_u32_e64 v2, null, s13, v2, vcc_lo
	s_waitcnt lgkmcnt(0)
	s_waitcnt_vscnt null, 0x0
	buffer_gl1_inv
	buffer_gl0_inv
	s_andn2_b32 s25, s25, exec_lo
	global_load_dword v1, v[1:2], off
	v_mov_b32_e32 v2, 0
	s_waitcnt vmcnt(0)
	v_fma_f32 v3, -v8, v1, v6
	s_or_b32 exec_lo, exec_lo, s0
	s_and_saveexec_b32 s0, s25
	s_cbranch_execz .LBB0_40
	s_branch .LBB0_37
.LBB0_32:                               ;   in Loop: Header=BB0_8 Depth=1
	s_mov_b32 s26, 0
	s_mov_b32 s1, exec_lo
	v_cmpx_ge_i32_e64 s16, v1
; %bb.33:                               ;   in Loop: Header=BB0_8 Depth=1
	s_mov_b32 s25, exec_lo
	s_and_b32 s26, s0, exec_lo
; %bb.34:                               ;   in Loop: Header=BB0_8 Depth=1
	s_or_b32 exec_lo, exec_lo, s1
.LBB0_35:                               ;   in Loop: Header=BB0_8 Depth=1
	s_mov_b32 s1, 2
	v_mov_b32_e32 v2, s1
	v_mov_b32_e32 v3, v6
	s_and_saveexec_b32 s0, s26
	s_cbranch_execnz .LBB0_23
.LBB0_36:                               ;   in Loop: Header=BB0_8 Depth=1
	s_or_b32 exec_lo, exec_lo, s0
	s_and_saveexec_b32 s0, s25
	s_cbranch_execz .LBB0_40
.LBB0_37:                               ;   in Loop: Header=BB0_8 Depth=1
	s_andn2_b32 vcc_lo, exec_lo, s21
	s_cbranch_vccnz .LBB0_39
; %bb.38:                               ;   in Loop: Header=BB0_8 Depth=1
	v_div_scale_f32 v1, null, v8, v8, 1.0
	v_div_scale_f32 v4, vcc_lo, 1.0, v8, 1.0
	v_rcp_f32_e32 v2, v1
	v_fma_f32 v3, -v1, v2, 1.0
	v_fmac_f32_e32 v2, v3, v2
	v_mul_f32_e32 v3, v4, v2
	v_fma_f32 v9, -v1, v3, v4
	v_fmac_f32_e32 v3, v9, v2
	v_fma_f32 v1, -v1, v3, v4
	v_div_fmas_f32 v1, v1, v2, v3
	v_mov_b32_e32 v2, s24
	v_div_fixup_f32 v1, v1, v8, 1.0
	ds_write_b32 v2, v1
.LBB0_39:                               ;   in Loop: Header=BB0_8 Depth=1
	v_mov_b32_e32 v2, 2
	v_mov_b32_e32 v3, v6
.LBB0_40:                               ;   in Loop: Header=BB0_8 Depth=1
	s_or_b32 exec_lo, exec_lo, s0
	v_mov_b32_e32 v6, v3
	s_mov_b32 s0, -1
	s_mov_b32 s1, -1
	s_mov_b32 s25, exec_lo
	v_cmpx_gt_i32_e32 4, v2
; %bb.41:                               ;   in Loop: Header=BB0_8 Depth=1
	v_cmp_eq_u32_e32 vcc_lo, 0, v2
	s_orn2_b32 s1, vcc_lo, exec_lo
; %bb.42:                               ;   in Loop: Header=BB0_8 Depth=1
	s_or_b32 exec_lo, exec_lo, s25
	s_and_saveexec_b32 s25, s1
	s_cbranch_execz .LBB0_7
; %bb.43:                               ;   in Loop: Header=BB0_8 Depth=1
	v_add_nc_u32_e32 v0, 64, v0
	v_cmp_le_i32_e32 vcc_lo, s20, v0
	s_orn2_b32 s0, vcc_lo, exec_lo
	s_branch .LBB0_7
.LBB0_44:
	s_or_b32 exec_lo, exec_lo, s22
.LBB0_45:
	s_or_b32 exec_lo, exec_lo, s17
	v_mbcnt_lo_u32_b32 v0, -1, 0
	s_cmp_lg_u32 s10, 0
	v_or_b32_e32 v1, 32, v0
	v_xor_b32_e32 v2, 16, v0
	v_xor_b32_e32 v3, 8, v0
	v_cmp_gt_i32_e32 vcc_lo, 32, v1
	v_cndmask_b32_e32 v1, v0, v1, vcc_lo
	v_cmp_gt_i32_e32 vcc_lo, 32, v2
	v_lshlrev_b32_e32 v1, 2, v1
	v_cndmask_b32_e32 v2, v0, v2, vcc_lo
	v_cmp_gt_i32_e32 vcc_lo, 32, v3
	ds_bpermute_b32 v1, v1, v6
	v_lshlrev_b32_e32 v2, 2, v2
	v_cndmask_b32_e32 v3, v0, v3, vcc_lo
	v_lshlrev_b32_e32 v3, 2, v3
	s_waitcnt lgkmcnt(0)
	v_add_f32_e32 v1, v6, v1
	ds_bpermute_b32 v2, v2, v1
	s_waitcnt lgkmcnt(0)
	v_add_f32_e32 v1, v1, v2
	ds_bpermute_b32 v2, v3, v1
	v_xor_b32_e32 v3, 4, v0
	v_cmp_gt_i32_e32 vcc_lo, 32, v3
	v_cndmask_b32_e32 v3, v0, v3, vcc_lo
	v_lshlrev_b32_e32 v3, 2, v3
	s_waitcnt lgkmcnt(0)
	v_add_f32_e32 v1, v1, v2
	ds_bpermute_b32 v2, v3, v1
	v_xor_b32_e32 v3, 2, v0
	v_cmp_gt_i32_e32 vcc_lo, 32, v3
	v_cndmask_b32_e32 v3, v0, v3, vcc_lo
	v_lshlrev_b32_e32 v3, 2, v3
	;; [unrolled: 7-line block ×3, first 2 shown]
	s_waitcnt lgkmcnt(0)
	v_add_f32_e32 v1, v1, v2
	ds_bpermute_b32 v0, v0, v1
	s_waitcnt lgkmcnt(0)
	v_add_f32_e32 v0, v1, v0
	s_cbranch_scc1 .LBB0_47
; %bb.46:
	s_lshl_b32 s0, s11, 2
	s_waitcnt_vscnt null, 0x0
	buffer_gl0_inv
	v_mov_b32_e32 v1, s0
	ds_read_b32 v1, v1
	s_waitcnt lgkmcnt(0)
	v_mul_f32_e32 v0, v0, v1
.LBB0_47:
	s_mov_b32 s0, exec_lo
	v_cmpx_eq_u32_e32 63, v5
	s_cbranch_execz .LBB0_49
; %bb.48:
	v_mov_b32_e32 v1, 0
	s_add_u32 s0, s12, s2
	v_mov_b32_e32 v2, 1
	s_addc_u32 s1, s13, s3
	s_add_u32 s2, s14, s2
	s_addc_u32 s3, s15, s3
	global_store_dword v1, v0, s[0:1] glc slc
	s_waitcnt_vscnt null, 0x0
	global_store_dword v1, v2, s[2:3]
.LBB0_49:
	s_endpgm
	.section	.rodata,"a",@progbits
	.p2align	6, 0x0
	.amdhsa_kernel _ZN9rocsparseL12csrsv_kernelILj1024ELj64ELb1EiifEEvT3_NS_24const_host_device_scalarIT4_EEPKT2_PKS1_PKS3_SB_lPS3_PiS9_iPS1_21rocsparse_index_base_20rocsparse_fill_mode_20rocsparse_diag_type_b
		.amdhsa_group_segment_fixed_size 64
		.amdhsa_private_segment_fixed_size 0
		.amdhsa_kernarg_size 112
		.amdhsa_user_sgpr_count 6
		.amdhsa_user_sgpr_private_segment_buffer 1
		.amdhsa_user_sgpr_dispatch_ptr 0
		.amdhsa_user_sgpr_queue_ptr 0
		.amdhsa_user_sgpr_kernarg_segment_ptr 1
		.amdhsa_user_sgpr_dispatch_id 0
		.amdhsa_user_sgpr_flat_scratch_init 0
		.amdhsa_user_sgpr_private_segment_size 0
		.amdhsa_wavefront_size32 1
		.amdhsa_uses_dynamic_stack 0
		.amdhsa_system_sgpr_private_segment_wavefront_offset 0
		.amdhsa_system_sgpr_workgroup_id_x 1
		.amdhsa_system_sgpr_workgroup_id_y 0
		.amdhsa_system_sgpr_workgroup_id_z 0
		.amdhsa_system_sgpr_workgroup_info 0
		.amdhsa_system_vgpr_workitem_id 0
		.amdhsa_next_free_vgpr 11
		.amdhsa_next_free_sgpr 29
		.amdhsa_reserve_vcc 1
		.amdhsa_reserve_flat_scratch 0
		.amdhsa_float_round_mode_32 0
		.amdhsa_float_round_mode_16_64 0
		.amdhsa_float_denorm_mode_32 3
		.amdhsa_float_denorm_mode_16_64 3
		.amdhsa_dx10_clamp 1
		.amdhsa_ieee_mode 1
		.amdhsa_fp16_overflow 0
		.amdhsa_workgroup_processor_mode 1
		.amdhsa_memory_ordered 1
		.amdhsa_forward_progress 1
		.amdhsa_shared_vgpr_count 0
		.amdhsa_exception_fp_ieee_invalid_op 0
		.amdhsa_exception_fp_denorm_src 0
		.amdhsa_exception_fp_ieee_div_zero 0
		.amdhsa_exception_fp_ieee_overflow 0
		.amdhsa_exception_fp_ieee_underflow 0
		.amdhsa_exception_fp_ieee_inexact 0
		.amdhsa_exception_int_div_zero 0
	.end_amdhsa_kernel
	.section	.text._ZN9rocsparseL12csrsv_kernelILj1024ELj64ELb1EiifEEvT3_NS_24const_host_device_scalarIT4_EEPKT2_PKS1_PKS3_SB_lPS3_PiS9_iPS1_21rocsparse_index_base_20rocsparse_fill_mode_20rocsparse_diag_type_b,"axG",@progbits,_ZN9rocsparseL12csrsv_kernelILj1024ELj64ELb1EiifEEvT3_NS_24const_host_device_scalarIT4_EEPKT2_PKS1_PKS3_SB_lPS3_PiS9_iPS1_21rocsparse_index_base_20rocsparse_fill_mode_20rocsparse_diag_type_b,comdat
.Lfunc_end0:
	.size	_ZN9rocsparseL12csrsv_kernelILj1024ELj64ELb1EiifEEvT3_NS_24const_host_device_scalarIT4_EEPKT2_PKS1_PKS3_SB_lPS3_PiS9_iPS1_21rocsparse_index_base_20rocsparse_fill_mode_20rocsparse_diag_type_b, .Lfunc_end0-_ZN9rocsparseL12csrsv_kernelILj1024ELj64ELb1EiifEEvT3_NS_24const_host_device_scalarIT4_EEPKT2_PKS1_PKS3_SB_lPS3_PiS9_iPS1_21rocsparse_index_base_20rocsparse_fill_mode_20rocsparse_diag_type_b
                                        ; -- End function
	.set _ZN9rocsparseL12csrsv_kernelILj1024ELj64ELb1EiifEEvT3_NS_24const_host_device_scalarIT4_EEPKT2_PKS1_PKS3_SB_lPS3_PiS9_iPS1_21rocsparse_index_base_20rocsparse_fill_mode_20rocsparse_diag_type_b.num_vgpr, 11
	.set _ZN9rocsparseL12csrsv_kernelILj1024ELj64ELb1EiifEEvT3_NS_24const_host_device_scalarIT4_EEPKT2_PKS1_PKS3_SB_lPS3_PiS9_iPS1_21rocsparse_index_base_20rocsparse_fill_mode_20rocsparse_diag_type_b.num_agpr, 0
	.set _ZN9rocsparseL12csrsv_kernelILj1024ELj64ELb1EiifEEvT3_NS_24const_host_device_scalarIT4_EEPKT2_PKS1_PKS3_SB_lPS3_PiS9_iPS1_21rocsparse_index_base_20rocsparse_fill_mode_20rocsparse_diag_type_b.numbered_sgpr, 29
	.set _ZN9rocsparseL12csrsv_kernelILj1024ELj64ELb1EiifEEvT3_NS_24const_host_device_scalarIT4_EEPKT2_PKS1_PKS3_SB_lPS3_PiS9_iPS1_21rocsparse_index_base_20rocsparse_fill_mode_20rocsparse_diag_type_b.num_named_barrier, 0
	.set _ZN9rocsparseL12csrsv_kernelILj1024ELj64ELb1EiifEEvT3_NS_24const_host_device_scalarIT4_EEPKT2_PKS1_PKS3_SB_lPS3_PiS9_iPS1_21rocsparse_index_base_20rocsparse_fill_mode_20rocsparse_diag_type_b.private_seg_size, 0
	.set _ZN9rocsparseL12csrsv_kernelILj1024ELj64ELb1EiifEEvT3_NS_24const_host_device_scalarIT4_EEPKT2_PKS1_PKS3_SB_lPS3_PiS9_iPS1_21rocsparse_index_base_20rocsparse_fill_mode_20rocsparse_diag_type_b.uses_vcc, 1
	.set _ZN9rocsparseL12csrsv_kernelILj1024ELj64ELb1EiifEEvT3_NS_24const_host_device_scalarIT4_EEPKT2_PKS1_PKS3_SB_lPS3_PiS9_iPS1_21rocsparse_index_base_20rocsparse_fill_mode_20rocsparse_diag_type_b.uses_flat_scratch, 0
	.set _ZN9rocsparseL12csrsv_kernelILj1024ELj64ELb1EiifEEvT3_NS_24const_host_device_scalarIT4_EEPKT2_PKS1_PKS3_SB_lPS3_PiS9_iPS1_21rocsparse_index_base_20rocsparse_fill_mode_20rocsparse_diag_type_b.has_dyn_sized_stack, 0
	.set _ZN9rocsparseL12csrsv_kernelILj1024ELj64ELb1EiifEEvT3_NS_24const_host_device_scalarIT4_EEPKT2_PKS1_PKS3_SB_lPS3_PiS9_iPS1_21rocsparse_index_base_20rocsparse_fill_mode_20rocsparse_diag_type_b.has_recursion, 0
	.set _ZN9rocsparseL12csrsv_kernelILj1024ELj64ELb1EiifEEvT3_NS_24const_host_device_scalarIT4_EEPKT2_PKS1_PKS3_SB_lPS3_PiS9_iPS1_21rocsparse_index_base_20rocsparse_fill_mode_20rocsparse_diag_type_b.has_indirect_call, 0
	.section	.AMDGPU.csdata,"",@progbits
; Kernel info:
; codeLenInByte = 1556
; TotalNumSgprs: 31
; NumVgprs: 11
; ScratchSize: 0
; MemoryBound: 0
; FloatMode: 240
; IeeeMode: 1
; LDSByteSize: 64 bytes/workgroup (compile time only)
; SGPRBlocks: 0
; VGPRBlocks: 1
; NumSGPRsForWavesPerEU: 31
; NumVGPRsForWavesPerEU: 11
; Occupancy: 16
; WaveLimiterHint : 1
; COMPUTE_PGM_RSRC2:SCRATCH_EN: 0
; COMPUTE_PGM_RSRC2:USER_SGPR: 6
; COMPUTE_PGM_RSRC2:TRAP_HANDLER: 0
; COMPUTE_PGM_RSRC2:TGID_X_EN: 1
; COMPUTE_PGM_RSRC2:TGID_Y_EN: 0
; COMPUTE_PGM_RSRC2:TGID_Z_EN: 0
; COMPUTE_PGM_RSRC2:TIDIG_COMP_CNT: 0
	.section	.text._ZN9rocsparseL12csrsv_kernelILj1024ELj32ELb0EiifEEvT3_NS_24const_host_device_scalarIT4_EEPKT2_PKS1_PKS3_SB_lPS3_PiS9_iPS1_21rocsparse_index_base_20rocsparse_fill_mode_20rocsparse_diag_type_b,"axG",@progbits,_ZN9rocsparseL12csrsv_kernelILj1024ELj32ELb0EiifEEvT3_NS_24const_host_device_scalarIT4_EEPKT2_PKS1_PKS3_SB_lPS3_PiS9_iPS1_21rocsparse_index_base_20rocsparse_fill_mode_20rocsparse_diag_type_b,comdat
	.globl	_ZN9rocsparseL12csrsv_kernelILj1024ELj32ELb0EiifEEvT3_NS_24const_host_device_scalarIT4_EEPKT2_PKS1_PKS3_SB_lPS3_PiS9_iPS1_21rocsparse_index_base_20rocsparse_fill_mode_20rocsparse_diag_type_b ; -- Begin function _ZN9rocsparseL12csrsv_kernelILj1024ELj32ELb0EiifEEvT3_NS_24const_host_device_scalarIT4_EEPKT2_PKS1_PKS3_SB_lPS3_PiS9_iPS1_21rocsparse_index_base_20rocsparse_fill_mode_20rocsparse_diag_type_b
	.p2align	8
	.type	_ZN9rocsparseL12csrsv_kernelILj1024ELj32ELb0EiifEEvT3_NS_24const_host_device_scalarIT4_EEPKT2_PKS1_PKS3_SB_lPS3_PiS9_iPS1_21rocsparse_index_base_20rocsparse_fill_mode_20rocsparse_diag_type_b,@function
_ZN9rocsparseL12csrsv_kernelILj1024ELj32ELb0EiifEEvT3_NS_24const_host_device_scalarIT4_EEPKT2_PKS1_PKS3_SB_lPS3_PiS9_iPS1_21rocsparse_index_base_20rocsparse_fill_mode_20rocsparse_diag_type_b: ; @_ZN9rocsparseL12csrsv_kernelILj1024ELj32ELb0EiifEEvT3_NS_24const_host_device_scalarIT4_EEPKT2_PKS1_PKS3_SB_lPS3_PiS9_iPS1_21rocsparse_index_base_20rocsparse_fill_mode_20rocsparse_diag_type_b
; %bb.0:
	s_clause 0x1
	s_load_dwordx4 s[8:11], s[4:5], 0x60
	s_load_dwordx2 s[0:1], s[4:5], 0x8
	s_waitcnt lgkmcnt(0)
	s_bitcmp1_b32 s11, 0
	s_cselect_b32 s2, -1, 0
	s_and_b32 vcc_lo, exec_lo, s2
	s_cbranch_vccnz .LBB1_2
; %bb.1:
	s_load_dword s0, s[0:1], 0x0
.LBB1_2:
	s_load_dword s2, s[4:5], 0x0
	v_readfirstlane_b32 s1, v0
	s_lshr_b32 s11, s1, 5
	s_lshl_b32 s1, s6, 5
	s_add_i32 s1, s11, s1
	s_waitcnt lgkmcnt(0)
	s_cmp_ge_i32 s1, s2
	s_cbranch_scc1 .LBB1_47
; %bb.3:
	s_clause 0x2
	s_load_dword s6, s[4:5], 0x50
	s_load_dwordx2 s[2:3], s[4:5], 0x48
	s_load_dwordx4 s[12:15], s[4:5], 0x38
	v_and_b32_e32 v5, 31, v0
	v_mov_b32_e32 v6, 0
	s_waitcnt lgkmcnt(0)
	s_add_i32 s6, s1, s6
	s_mov_b32 s1, exec_lo
	s_ashr_i32 s7, s6, 31
	s_lshl_b64 s[6:7], s[6:7], 2
	s_add_u32 s2, s2, s6
	s_addc_u32 s3, s3, s7
	s_load_dword s16, s[2:3], 0x0
	s_load_dwordx2 s[6:7], s[4:5], 0x10
	s_waitcnt lgkmcnt(0)
	s_ashr_i32 s17, s16, 31
	s_lshl_b64 s[2:3], s[16:17], 2
	s_add_u32 s6, s6, s2
	s_addc_u32 s7, s7, s3
	s_load_dwordx2 s[6:7], s[6:7], 0x0
	v_cmpx_eq_u32_e32 0, v5
	s_cbranch_execz .LBB1_5
; %bb.4:
	s_load_dwordx4 s[20:23], s[4:5], 0x28
	s_waitcnt lgkmcnt(0)
	s_mul_i32 s17, s22, s17
	s_mul_hi_u32 s18, s22, s16
	s_mul_i32 s19, s23, s16
	s_add_i32 s17, s18, s17
	s_mul_i32 s18, s22, s16
	s_add_i32 s19, s17, s19
	s_lshl_b64 s[18:19], s[18:19], 2
	s_add_u32 s18, s20, s18
	s_addc_u32 s19, s21, s19
	s_load_dword s17, s[18:19], 0x0
	s_waitcnt lgkmcnt(0)
	v_mul_f32_e64 v6, s0, s17
.LBB1_5:
	s_or_b32 exec_lo, exec_lo, s1
	v_subrev_nc_u32_e32 v0, s8, v5
	s_waitcnt lgkmcnt(0)
	s_sub_i32 s20, s7, s8
	s_mov_b32 s17, exec_lo
	v_add_nc_u32_e32 v0, s6, v0
	v_cmpx_gt_i32_e64 s20, v0
	s_cbranch_execz .LBB1_43
; %bb.6:
	s_clause 0x1
	s_load_dwordx2 s[18:19], s[4:5], 0x58
	s_load_dwordx4 s[4:7], s[4:5], 0x18
	v_mov_b32_e32 v7, 0
	s_cmp_eq_u32 s10, 0
	s_mov_b32 s22, 0
	s_cselect_b32 s21, -1, 0
	s_add_i32 s23, s16, s8
	s_lshl_b32 s24, s11, 2
	s_branch .LBB1_8
.LBB1_7:                                ;   in Loop: Header=BB1_8 Depth=1
	s_or_b32 exec_lo, exec_lo, s25
	s_and_b32 s0, exec_lo, s0
	s_or_b32 s22, s0, s22
	s_andn2_b32 exec_lo, exec_lo, s22
	s_cbranch_execz .LBB1_42
.LBB1_8:                                ; =>This Loop Header: Depth=1
                                        ;     Child Loop BB1_25 Depth 2
	v_ashrrev_i32_e32 v1, 31, v0
	v_lshlrev_b64 v[1:2], 2, v[0:1]
	s_waitcnt lgkmcnt(0)
	v_add_co_u32 v3, vcc_lo, s4, v1
	v_add_co_ci_u32_e64 v4, null, s5, v2, vcc_lo
	v_add_co_u32 v1, vcc_lo, s6, v1
	v_add_co_ci_u32_e64 v2, null, s7, v2, vcc_lo
	global_load_dword v3, v[3:4], off slc
	global_load_dword v8, v[1:2], off slc
	s_waitcnt vmcnt(1)
	v_subrev_nc_u32_e32 v1, s8, v3
	s_waitcnt vmcnt(0)
	v_cmp_eq_f32_e64 s1, 0, v8
	v_cmp_eq_u32_e32 vcc_lo, s16, v1
	v_cmp_ne_u32_e64 s0, s16, v1
	s_and_b32 s25, s21, vcc_lo
	s_and_b32 s1, s1, s25
	s_and_saveexec_b32 s25, s1
	s_cbranch_execz .LBB1_12
; %bb.9:                                ;   in Loop: Header=BB1_8 Depth=1
	v_mbcnt_lo_u32_b32 v2, exec_lo, 0
	s_mov_b32 s26, exec_lo
	v_cmpx_eq_u32_e32 0, v2
	s_cbranch_execz .LBB1_11
; %bb.10:                               ;   in Loop: Header=BB1_8 Depth=1
	v_mov_b32_e32 v2, s23
	global_atomic_smin v7, v2, s[18:19]
.LBB1_11:                               ;   in Loop: Header=BB1_8 Depth=1
	s_or_b32 exec_lo, exec_lo, s26
	v_mov_b32_e32 v8, 1.0
.LBB1_12:                               ;   in Loop: Header=BB1_8 Depth=1
	s_or_b32 exec_lo, exec_lo, s25
	s_mov_b32 s1, -1
	s_mov_b32 s25, 0
	s_cmp_lt_i32 s9, 1
	s_mov_b32 s26, 0
	s_cbranch_scc1 .LBB1_27
; %bb.13:                               ;   in Loop: Header=BB1_8 Depth=1
	s_cmp_eq_u32 s9, 1
	s_mov_b32 s26, -1
	s_cbranch_scc0 .LBB1_21
; %bb.14:                               ;   in Loop: Header=BB1_8 Depth=1
	s_mov_b32 s26, 0
	s_mov_b32 s27, exec_lo
	v_cmpx_le_i32_e64 s16, v1
	s_cbranch_execz .LBB1_20
; %bb.15:                               ;   in Loop: Header=BB1_8 Depth=1
	s_mov_b32 s26, -1
	s_and_saveexec_b32 s1, vcc_lo
	s_xor_b32 s1, exec_lo, s1
	s_cbranch_execz .LBB1_19
; %bb.16:                               ;   in Loop: Header=BB1_8 Depth=1
	s_andn2_b32 vcc_lo, exec_lo, s21
	s_cbranch_vccnz .LBB1_18
; %bb.17:                               ;   in Loop: Header=BB1_8 Depth=1
	v_div_scale_f32 v2, null, v8, v8, 1.0
	v_div_scale_f32 v9, vcc_lo, 1.0, v8, 1.0
	v_rcp_f32_e32 v3, v2
	v_fma_f32 v4, -v2, v3, 1.0
	v_fmac_f32_e32 v3, v4, v3
	v_mul_f32_e32 v4, v9, v3
	v_fma_f32 v10, -v2, v4, v9
	v_fmac_f32_e32 v4, v10, v3
	v_fma_f32 v2, -v2, v4, v9
	v_div_fmas_f32 v2, v2, v3, v4
	v_mov_b32_e32 v3, s24
	v_div_fixup_f32 v2, v2, v8, 1.0
	ds_write_b32 v3, v2
.LBB1_18:                               ;   in Loop: Header=BB1_8 Depth=1
	s_xor_b32 s26, exec_lo, -1
.LBB1_19:                               ;   in Loop: Header=BB1_8 Depth=1
	s_or_b32 exec_lo, exec_lo, s1
	s_and_b32 s26, s26, exec_lo
.LBB1_20:                               ;   in Loop: Header=BB1_8 Depth=1
	s_or_b32 exec_lo, exec_lo, s27
.LBB1_21:                               ;   in Loop: Header=BB1_8 Depth=1
	s_mov_b32 s1, 4
.LBB1_22:                               ;   in Loop: Header=BB1_8 Depth=1
	v_mov_b32_e32 v2, s1
	v_mov_b32_e32 v3, v6
	s_and_saveexec_b32 s0, s26
	s_cbranch_execz .LBB1_34
.LBB1_23:                               ;   in Loop: Header=BB1_8 Depth=1
	v_ashrrev_i32_e32 v2, 31, v1
	s_mov_b32 s1, exec_lo
	v_lshlrev_b64 v[1:2], 2, v[1:2]
	v_add_co_u32 v3, vcc_lo, s14, v1
	v_add_co_ci_u32_e64 v4, null, s15, v2, vcc_lo
	global_load_dword v9, v[3:4], off glc dlc
	s_waitcnt vmcnt(0)
	v_cmpx_eq_u32_e32 0, v9
	s_cbranch_execz .LBB1_26
; %bb.24:                               ;   in Loop: Header=BB1_8 Depth=1
	s_mov_b32 s26, 0
.LBB1_25:                               ;   Parent Loop BB1_8 Depth=1
                                        ; =>  This Inner Loop Header: Depth=2
	global_load_dword v9, v[3:4], off glc dlc
	s_waitcnt vmcnt(0)
	v_cmp_ne_u32_e32 vcc_lo, 0, v9
	s_or_b32 s26, vcc_lo, s26
	s_andn2_b32 exec_lo, exec_lo, s26
	s_cbranch_execnz .LBB1_25
.LBB1_26:                               ;   in Loop: Header=BB1_8 Depth=1
	s_or_b32 exec_lo, exec_lo, s1
	v_add_co_u32 v1, vcc_lo, s12, v1
	v_add_co_ci_u32_e64 v2, null, s13, v2, vcc_lo
	s_waitcnt lgkmcnt(0)
	s_waitcnt_vscnt null, 0x0
	buffer_gl1_inv
	buffer_gl0_inv
	s_andn2_b32 s25, s25, exec_lo
	global_load_dword v1, v[1:2], off
	v_mov_b32_e32 v2, 0
	s_waitcnt vmcnt(0)
	v_fma_f32 v3, -v8, v1, v6
	s_or_b32 exec_lo, exec_lo, s0
	s_and_saveexec_b32 s0, s25
	s_cbranch_execnz .LBB1_35
	s_branch .LBB1_38
.LBB1_27:                               ;   in Loop: Header=BB1_8 Depth=1
	s_and_b32 vcc_lo, exec_lo, s1
	s_mov_b32 s1, 4
	s_cbranch_vccz .LBB1_22
; %bb.28:                               ;   in Loop: Header=BB1_8 Depth=1
	s_cmp_eq_u32 s9, 0
	s_cbranch_scc1 .LBB1_30
; %bb.29:                               ;   in Loop: Header=BB1_8 Depth=1
	s_mov_b32 s26, -1
	s_branch .LBB1_33
.LBB1_30:                               ;   in Loop: Header=BB1_8 Depth=1
	s_mov_b32 s26, 0
	s_mov_b32 s1, exec_lo
	v_cmpx_ge_i32_e64 s16, v1
; %bb.31:                               ;   in Loop: Header=BB1_8 Depth=1
	s_mov_b32 s25, exec_lo
	s_and_b32 s26, s0, exec_lo
; %bb.32:                               ;   in Loop: Header=BB1_8 Depth=1
	s_or_b32 exec_lo, exec_lo, s1
.LBB1_33:                               ;   in Loop: Header=BB1_8 Depth=1
	s_mov_b32 s1, 2
	v_mov_b32_e32 v2, s1
	v_mov_b32_e32 v3, v6
	s_and_saveexec_b32 s0, s26
	s_cbranch_execnz .LBB1_23
.LBB1_34:                               ;   in Loop: Header=BB1_8 Depth=1
	s_or_b32 exec_lo, exec_lo, s0
	s_and_saveexec_b32 s0, s25
	s_cbranch_execz .LBB1_38
.LBB1_35:                               ;   in Loop: Header=BB1_8 Depth=1
	s_andn2_b32 vcc_lo, exec_lo, s21
	s_cbranch_vccnz .LBB1_37
; %bb.36:                               ;   in Loop: Header=BB1_8 Depth=1
	v_div_scale_f32 v1, null, v8, v8, 1.0
	v_div_scale_f32 v4, vcc_lo, 1.0, v8, 1.0
	v_rcp_f32_e32 v2, v1
	v_fma_f32 v3, -v1, v2, 1.0
	v_fmac_f32_e32 v2, v3, v2
	v_mul_f32_e32 v3, v4, v2
	v_fma_f32 v9, -v1, v3, v4
	v_fmac_f32_e32 v3, v9, v2
	v_fma_f32 v1, -v1, v3, v4
	v_div_fmas_f32 v1, v1, v2, v3
	v_mov_b32_e32 v2, s24
	v_div_fixup_f32 v1, v1, v8, 1.0
	ds_write_b32 v2, v1
.LBB1_37:                               ;   in Loop: Header=BB1_8 Depth=1
	v_mov_b32_e32 v2, 2
	v_mov_b32_e32 v3, v6
.LBB1_38:                               ;   in Loop: Header=BB1_8 Depth=1
	s_or_b32 exec_lo, exec_lo, s0
	v_mov_b32_e32 v6, v3
	s_mov_b32 s0, -1
	s_mov_b32 s1, -1
	s_mov_b32 s25, exec_lo
	v_cmpx_gt_i32_e32 4, v2
; %bb.39:                               ;   in Loop: Header=BB1_8 Depth=1
	v_cmp_eq_u32_e32 vcc_lo, 0, v2
	s_orn2_b32 s1, vcc_lo, exec_lo
; %bb.40:                               ;   in Loop: Header=BB1_8 Depth=1
	s_or_b32 exec_lo, exec_lo, s25
	s_and_saveexec_b32 s25, s1
	s_cbranch_execz .LBB1_7
; %bb.41:                               ;   in Loop: Header=BB1_8 Depth=1
	v_add_nc_u32_e32 v0, 32, v0
	v_cmp_le_i32_e32 vcc_lo, s20, v0
	s_orn2_b32 s0, vcc_lo, exec_lo
	s_branch .LBB1_7
.LBB1_42:
	s_or_b32 exec_lo, exec_lo, s22
.LBB1_43:
	s_or_b32 exec_lo, exec_lo, s17
	v_mbcnt_lo_u32_b32 v0, -1, 0
	s_cmp_lg_u32 s10, 0
	v_xor_b32_e32 v1, 16, v0
	v_xor_b32_e32 v2, 8, v0
	;; [unrolled: 1-line block ×3, first 2 shown]
	v_cmp_gt_i32_e32 vcc_lo, 32, v1
	v_cndmask_b32_e32 v1, v0, v1, vcc_lo
	v_cmp_gt_i32_e32 vcc_lo, 32, v2
	v_lshlrev_b32_e32 v1, 2, v1
	v_cndmask_b32_e32 v2, v0, v2, vcc_lo
	v_cmp_gt_i32_e32 vcc_lo, 32, v3
	ds_bpermute_b32 v1, v1, v6
	v_lshlrev_b32_e32 v2, 2, v2
	v_cndmask_b32_e32 v3, v0, v3, vcc_lo
	v_lshlrev_b32_e32 v3, 2, v3
	s_waitcnt lgkmcnt(0)
	v_add_f32_e32 v1, v6, v1
	ds_bpermute_b32 v2, v2, v1
	s_waitcnt lgkmcnt(0)
	v_add_f32_e32 v1, v1, v2
	ds_bpermute_b32 v2, v3, v1
	v_xor_b32_e32 v3, 2, v0
	v_cmp_gt_i32_e32 vcc_lo, 32, v3
	v_cndmask_b32_e32 v3, v0, v3, vcc_lo
	v_lshlrev_b32_e32 v3, 2, v3
	s_waitcnt lgkmcnt(0)
	v_add_f32_e32 v1, v1, v2
	ds_bpermute_b32 v2, v3, v1
	v_xor_b32_e32 v3, 1, v0
	v_cmp_gt_i32_e32 vcc_lo, 32, v3
	v_cndmask_b32_e32 v0, v0, v3, vcc_lo
	v_lshlrev_b32_e32 v0, 2, v0
	s_waitcnt lgkmcnt(0)
	v_add_f32_e32 v1, v1, v2
	ds_bpermute_b32 v0, v0, v1
	s_waitcnt lgkmcnt(0)
	v_add_f32_e32 v0, v1, v0
	s_cbranch_scc1 .LBB1_45
; %bb.44:
	s_lshl_b32 s0, s11, 2
	s_waitcnt_vscnt null, 0x0
	buffer_gl0_inv
	v_mov_b32_e32 v1, s0
	ds_read_b32 v1, v1
	s_waitcnt lgkmcnt(0)
	v_mul_f32_e32 v0, v0, v1
.LBB1_45:
	s_mov_b32 s0, exec_lo
	v_cmpx_eq_u32_e32 31, v5
	s_cbranch_execz .LBB1_47
; %bb.46:
	v_mov_b32_e32 v1, 0
	s_add_u32 s0, s12, s2
	v_mov_b32_e32 v2, 1
	s_addc_u32 s1, s13, s3
	s_add_u32 s2, s14, s2
	s_addc_u32 s3, s15, s3
	global_store_dword v1, v0, s[0:1] glc slc
	s_waitcnt_vscnt null, 0x0
	global_store_dword v1, v2, s[2:3]
.LBB1_47:
	s_endpgm
	.section	.rodata,"a",@progbits
	.p2align	6, 0x0
	.amdhsa_kernel _ZN9rocsparseL12csrsv_kernelILj1024ELj32ELb0EiifEEvT3_NS_24const_host_device_scalarIT4_EEPKT2_PKS1_PKS3_SB_lPS3_PiS9_iPS1_21rocsparse_index_base_20rocsparse_fill_mode_20rocsparse_diag_type_b
		.amdhsa_group_segment_fixed_size 128
		.amdhsa_private_segment_fixed_size 0
		.amdhsa_kernarg_size 112
		.amdhsa_user_sgpr_count 6
		.amdhsa_user_sgpr_private_segment_buffer 1
		.amdhsa_user_sgpr_dispatch_ptr 0
		.amdhsa_user_sgpr_queue_ptr 0
		.amdhsa_user_sgpr_kernarg_segment_ptr 1
		.amdhsa_user_sgpr_dispatch_id 0
		.amdhsa_user_sgpr_flat_scratch_init 0
		.amdhsa_user_sgpr_private_segment_size 0
		.amdhsa_wavefront_size32 1
		.amdhsa_uses_dynamic_stack 0
		.amdhsa_system_sgpr_private_segment_wavefront_offset 0
		.amdhsa_system_sgpr_workgroup_id_x 1
		.amdhsa_system_sgpr_workgroup_id_y 0
		.amdhsa_system_sgpr_workgroup_id_z 0
		.amdhsa_system_sgpr_workgroup_info 0
		.amdhsa_system_vgpr_workitem_id 0
		.amdhsa_next_free_vgpr 11
		.amdhsa_next_free_sgpr 28
		.amdhsa_reserve_vcc 1
		.amdhsa_reserve_flat_scratch 0
		.amdhsa_float_round_mode_32 0
		.amdhsa_float_round_mode_16_64 0
		.amdhsa_float_denorm_mode_32 3
		.amdhsa_float_denorm_mode_16_64 3
		.amdhsa_dx10_clamp 1
		.amdhsa_ieee_mode 1
		.amdhsa_fp16_overflow 0
		.amdhsa_workgroup_processor_mode 1
		.amdhsa_memory_ordered 1
		.amdhsa_forward_progress 1
		.amdhsa_shared_vgpr_count 0
		.amdhsa_exception_fp_ieee_invalid_op 0
		.amdhsa_exception_fp_denorm_src 0
		.amdhsa_exception_fp_ieee_div_zero 0
		.amdhsa_exception_fp_ieee_overflow 0
		.amdhsa_exception_fp_ieee_underflow 0
		.amdhsa_exception_fp_ieee_inexact 0
		.amdhsa_exception_int_div_zero 0
	.end_amdhsa_kernel
	.section	.text._ZN9rocsparseL12csrsv_kernelILj1024ELj32ELb0EiifEEvT3_NS_24const_host_device_scalarIT4_EEPKT2_PKS1_PKS3_SB_lPS3_PiS9_iPS1_21rocsparse_index_base_20rocsparse_fill_mode_20rocsparse_diag_type_b,"axG",@progbits,_ZN9rocsparseL12csrsv_kernelILj1024ELj32ELb0EiifEEvT3_NS_24const_host_device_scalarIT4_EEPKT2_PKS1_PKS3_SB_lPS3_PiS9_iPS1_21rocsparse_index_base_20rocsparse_fill_mode_20rocsparse_diag_type_b,comdat
.Lfunc_end1:
	.size	_ZN9rocsparseL12csrsv_kernelILj1024ELj32ELb0EiifEEvT3_NS_24const_host_device_scalarIT4_EEPKT2_PKS1_PKS3_SB_lPS3_PiS9_iPS1_21rocsparse_index_base_20rocsparse_fill_mode_20rocsparse_diag_type_b, .Lfunc_end1-_ZN9rocsparseL12csrsv_kernelILj1024ELj32ELb0EiifEEvT3_NS_24const_host_device_scalarIT4_EEPKT2_PKS1_PKS3_SB_lPS3_PiS9_iPS1_21rocsparse_index_base_20rocsparse_fill_mode_20rocsparse_diag_type_b
                                        ; -- End function
	.set _ZN9rocsparseL12csrsv_kernelILj1024ELj32ELb0EiifEEvT3_NS_24const_host_device_scalarIT4_EEPKT2_PKS1_PKS3_SB_lPS3_PiS9_iPS1_21rocsparse_index_base_20rocsparse_fill_mode_20rocsparse_diag_type_b.num_vgpr, 11
	.set _ZN9rocsparseL12csrsv_kernelILj1024ELj32ELb0EiifEEvT3_NS_24const_host_device_scalarIT4_EEPKT2_PKS1_PKS3_SB_lPS3_PiS9_iPS1_21rocsparse_index_base_20rocsparse_fill_mode_20rocsparse_diag_type_b.num_agpr, 0
	.set _ZN9rocsparseL12csrsv_kernelILj1024ELj32ELb0EiifEEvT3_NS_24const_host_device_scalarIT4_EEPKT2_PKS1_PKS3_SB_lPS3_PiS9_iPS1_21rocsparse_index_base_20rocsparse_fill_mode_20rocsparse_diag_type_b.numbered_sgpr, 28
	.set _ZN9rocsparseL12csrsv_kernelILj1024ELj32ELb0EiifEEvT3_NS_24const_host_device_scalarIT4_EEPKT2_PKS1_PKS3_SB_lPS3_PiS9_iPS1_21rocsparse_index_base_20rocsparse_fill_mode_20rocsparse_diag_type_b.num_named_barrier, 0
	.set _ZN9rocsparseL12csrsv_kernelILj1024ELj32ELb0EiifEEvT3_NS_24const_host_device_scalarIT4_EEPKT2_PKS1_PKS3_SB_lPS3_PiS9_iPS1_21rocsparse_index_base_20rocsparse_fill_mode_20rocsparse_diag_type_b.private_seg_size, 0
	.set _ZN9rocsparseL12csrsv_kernelILj1024ELj32ELb0EiifEEvT3_NS_24const_host_device_scalarIT4_EEPKT2_PKS1_PKS3_SB_lPS3_PiS9_iPS1_21rocsparse_index_base_20rocsparse_fill_mode_20rocsparse_diag_type_b.uses_vcc, 1
	.set _ZN9rocsparseL12csrsv_kernelILj1024ELj32ELb0EiifEEvT3_NS_24const_host_device_scalarIT4_EEPKT2_PKS1_PKS3_SB_lPS3_PiS9_iPS1_21rocsparse_index_base_20rocsparse_fill_mode_20rocsparse_diag_type_b.uses_flat_scratch, 0
	.set _ZN9rocsparseL12csrsv_kernelILj1024ELj32ELb0EiifEEvT3_NS_24const_host_device_scalarIT4_EEPKT2_PKS1_PKS3_SB_lPS3_PiS9_iPS1_21rocsparse_index_base_20rocsparse_fill_mode_20rocsparse_diag_type_b.has_dyn_sized_stack, 0
	.set _ZN9rocsparseL12csrsv_kernelILj1024ELj32ELb0EiifEEvT3_NS_24const_host_device_scalarIT4_EEPKT2_PKS1_PKS3_SB_lPS3_PiS9_iPS1_21rocsparse_index_base_20rocsparse_fill_mode_20rocsparse_diag_type_b.has_recursion, 0
	.set _ZN9rocsparseL12csrsv_kernelILj1024ELj32ELb0EiifEEvT3_NS_24const_host_device_scalarIT4_EEPKT2_PKS1_PKS3_SB_lPS3_PiS9_iPS1_21rocsparse_index_base_20rocsparse_fill_mode_20rocsparse_diag_type_b.has_indirect_call, 0
	.section	.AMDGPU.csdata,"",@progbits
; Kernel info:
; codeLenInByte = 1424
; TotalNumSgprs: 30
; NumVgprs: 11
; ScratchSize: 0
; MemoryBound: 0
; FloatMode: 240
; IeeeMode: 1
; LDSByteSize: 128 bytes/workgroup (compile time only)
; SGPRBlocks: 0
; VGPRBlocks: 1
; NumSGPRsForWavesPerEU: 30
; NumVGPRsForWavesPerEU: 11
; Occupancy: 16
; WaveLimiterHint : 1
; COMPUTE_PGM_RSRC2:SCRATCH_EN: 0
; COMPUTE_PGM_RSRC2:USER_SGPR: 6
; COMPUTE_PGM_RSRC2:TRAP_HANDLER: 0
; COMPUTE_PGM_RSRC2:TGID_X_EN: 1
; COMPUTE_PGM_RSRC2:TGID_Y_EN: 0
; COMPUTE_PGM_RSRC2:TGID_Z_EN: 0
; COMPUTE_PGM_RSRC2:TIDIG_COMP_CNT: 0
	.section	.text._ZN9rocsparseL12csrsv_kernelILj1024ELj64ELb0EiifEEvT3_NS_24const_host_device_scalarIT4_EEPKT2_PKS1_PKS3_SB_lPS3_PiS9_iPS1_21rocsparse_index_base_20rocsparse_fill_mode_20rocsparse_diag_type_b,"axG",@progbits,_ZN9rocsparseL12csrsv_kernelILj1024ELj64ELb0EiifEEvT3_NS_24const_host_device_scalarIT4_EEPKT2_PKS1_PKS3_SB_lPS3_PiS9_iPS1_21rocsparse_index_base_20rocsparse_fill_mode_20rocsparse_diag_type_b,comdat
	.globl	_ZN9rocsparseL12csrsv_kernelILj1024ELj64ELb0EiifEEvT3_NS_24const_host_device_scalarIT4_EEPKT2_PKS1_PKS3_SB_lPS3_PiS9_iPS1_21rocsparse_index_base_20rocsparse_fill_mode_20rocsparse_diag_type_b ; -- Begin function _ZN9rocsparseL12csrsv_kernelILj1024ELj64ELb0EiifEEvT3_NS_24const_host_device_scalarIT4_EEPKT2_PKS1_PKS3_SB_lPS3_PiS9_iPS1_21rocsparse_index_base_20rocsparse_fill_mode_20rocsparse_diag_type_b
	.p2align	8
	.type	_ZN9rocsparseL12csrsv_kernelILj1024ELj64ELb0EiifEEvT3_NS_24const_host_device_scalarIT4_EEPKT2_PKS1_PKS3_SB_lPS3_PiS9_iPS1_21rocsparse_index_base_20rocsparse_fill_mode_20rocsparse_diag_type_b,@function
_ZN9rocsparseL12csrsv_kernelILj1024ELj64ELb0EiifEEvT3_NS_24const_host_device_scalarIT4_EEPKT2_PKS1_PKS3_SB_lPS3_PiS9_iPS1_21rocsparse_index_base_20rocsparse_fill_mode_20rocsparse_diag_type_b: ; @_ZN9rocsparseL12csrsv_kernelILj1024ELj64ELb0EiifEEvT3_NS_24const_host_device_scalarIT4_EEPKT2_PKS1_PKS3_SB_lPS3_PiS9_iPS1_21rocsparse_index_base_20rocsparse_fill_mode_20rocsparse_diag_type_b
; %bb.0:
	s_clause 0x1
	s_load_dwordx4 s[8:11], s[4:5], 0x60
	s_load_dwordx2 s[0:1], s[4:5], 0x8
	s_waitcnt lgkmcnt(0)
	s_bitcmp1_b32 s11, 0
	s_cselect_b32 s2, -1, 0
	s_and_b32 vcc_lo, exec_lo, s2
	s_cbranch_vccnz .LBB2_2
; %bb.1:
	s_load_dword s0, s[0:1], 0x0
.LBB2_2:
	s_load_dword s2, s[4:5], 0x0
	v_readfirstlane_b32 s1, v0
	s_lshr_b32 s11, s1, 6
	s_lshl_b32 s1, s6, 4
	s_add_i32 s1, s11, s1
	s_waitcnt lgkmcnt(0)
	s_cmp_ge_i32 s1, s2
	s_cbranch_scc1 .LBB2_47
; %bb.3:
	s_clause 0x2
	s_load_dword s6, s[4:5], 0x50
	s_load_dwordx2 s[2:3], s[4:5], 0x48
	s_load_dwordx4 s[12:15], s[4:5], 0x38
	v_and_b32_e32 v5, 63, v0
	v_mov_b32_e32 v6, 0
	s_waitcnt lgkmcnt(0)
	s_add_i32 s6, s1, s6
	s_mov_b32 s1, exec_lo
	s_ashr_i32 s7, s6, 31
	s_lshl_b64 s[6:7], s[6:7], 2
	s_add_u32 s2, s2, s6
	s_addc_u32 s3, s3, s7
	s_load_dword s16, s[2:3], 0x0
	s_load_dwordx2 s[6:7], s[4:5], 0x10
	s_waitcnt lgkmcnt(0)
	s_ashr_i32 s17, s16, 31
	s_lshl_b64 s[2:3], s[16:17], 2
	s_add_u32 s6, s6, s2
	s_addc_u32 s7, s7, s3
	s_load_dwordx2 s[6:7], s[6:7], 0x0
	v_cmpx_eq_u32_e32 0, v5
	s_cbranch_execz .LBB2_5
; %bb.4:
	s_load_dwordx4 s[20:23], s[4:5], 0x28
	s_waitcnt lgkmcnt(0)
	s_mul_i32 s17, s22, s17
	s_mul_hi_u32 s18, s22, s16
	s_mul_i32 s19, s23, s16
	s_add_i32 s17, s18, s17
	s_mul_i32 s18, s22, s16
	s_add_i32 s19, s17, s19
	s_lshl_b64 s[18:19], s[18:19], 2
	s_add_u32 s18, s20, s18
	s_addc_u32 s19, s21, s19
	s_load_dword s17, s[18:19], 0x0
	s_waitcnt lgkmcnt(0)
	v_mul_f32_e64 v6, s0, s17
.LBB2_5:
	s_or_b32 exec_lo, exec_lo, s1
	v_subrev_nc_u32_e32 v0, s8, v5
	s_waitcnt lgkmcnt(0)
	s_sub_i32 s20, s7, s8
	s_mov_b32 s17, exec_lo
	v_add_nc_u32_e32 v0, s6, v0
	v_cmpx_gt_i32_e64 s20, v0
	s_cbranch_execz .LBB2_43
; %bb.6:
	s_clause 0x1
	s_load_dwordx2 s[18:19], s[4:5], 0x58
	s_load_dwordx4 s[4:7], s[4:5], 0x18
	v_mov_b32_e32 v7, 0
	s_cmp_eq_u32 s10, 0
	s_mov_b32 s22, 0
	s_cselect_b32 s21, -1, 0
	s_add_i32 s23, s16, s8
	s_lshl_b32 s24, s11, 2
	s_branch .LBB2_8
.LBB2_7:                                ;   in Loop: Header=BB2_8 Depth=1
	s_or_b32 exec_lo, exec_lo, s25
	s_and_b32 s0, exec_lo, s0
	s_or_b32 s22, s0, s22
	s_andn2_b32 exec_lo, exec_lo, s22
	s_cbranch_execz .LBB2_42
.LBB2_8:                                ; =>This Loop Header: Depth=1
                                        ;     Child Loop BB2_25 Depth 2
	v_ashrrev_i32_e32 v1, 31, v0
	v_lshlrev_b64 v[1:2], 2, v[0:1]
	s_waitcnt lgkmcnt(0)
	v_add_co_u32 v3, vcc_lo, s4, v1
	v_add_co_ci_u32_e64 v4, null, s5, v2, vcc_lo
	v_add_co_u32 v1, vcc_lo, s6, v1
	v_add_co_ci_u32_e64 v2, null, s7, v2, vcc_lo
	global_load_dword v3, v[3:4], off slc
	global_load_dword v8, v[1:2], off slc
	s_waitcnt vmcnt(1)
	v_subrev_nc_u32_e32 v1, s8, v3
	s_waitcnt vmcnt(0)
	v_cmp_eq_f32_e64 s1, 0, v8
	v_cmp_eq_u32_e32 vcc_lo, s16, v1
	v_cmp_ne_u32_e64 s0, s16, v1
	s_and_b32 s25, s21, vcc_lo
	s_and_b32 s1, s1, s25
	s_and_saveexec_b32 s25, s1
	s_cbranch_execz .LBB2_12
; %bb.9:                                ;   in Loop: Header=BB2_8 Depth=1
	v_mbcnt_lo_u32_b32 v2, exec_lo, 0
	s_mov_b32 s26, exec_lo
	v_cmpx_eq_u32_e32 0, v2
	s_cbranch_execz .LBB2_11
; %bb.10:                               ;   in Loop: Header=BB2_8 Depth=1
	v_mov_b32_e32 v2, s23
	global_atomic_smin v7, v2, s[18:19]
.LBB2_11:                               ;   in Loop: Header=BB2_8 Depth=1
	s_or_b32 exec_lo, exec_lo, s26
	v_mov_b32_e32 v8, 1.0
.LBB2_12:                               ;   in Loop: Header=BB2_8 Depth=1
	s_or_b32 exec_lo, exec_lo, s25
	s_mov_b32 s1, -1
	s_mov_b32 s25, 0
	s_cmp_lt_i32 s9, 1
	s_mov_b32 s26, 0
	s_cbranch_scc1 .LBB2_27
; %bb.13:                               ;   in Loop: Header=BB2_8 Depth=1
	s_cmp_eq_u32 s9, 1
	s_mov_b32 s26, -1
	s_cbranch_scc0 .LBB2_21
; %bb.14:                               ;   in Loop: Header=BB2_8 Depth=1
	s_mov_b32 s26, 0
	s_mov_b32 s27, exec_lo
	v_cmpx_le_i32_e64 s16, v1
	s_cbranch_execz .LBB2_20
; %bb.15:                               ;   in Loop: Header=BB2_8 Depth=1
	s_mov_b32 s26, -1
	s_and_saveexec_b32 s1, vcc_lo
	s_xor_b32 s1, exec_lo, s1
	s_cbranch_execz .LBB2_19
; %bb.16:                               ;   in Loop: Header=BB2_8 Depth=1
	s_andn2_b32 vcc_lo, exec_lo, s21
	s_cbranch_vccnz .LBB2_18
; %bb.17:                               ;   in Loop: Header=BB2_8 Depth=1
	v_div_scale_f32 v2, null, v8, v8, 1.0
	v_div_scale_f32 v9, vcc_lo, 1.0, v8, 1.0
	v_rcp_f32_e32 v3, v2
	v_fma_f32 v4, -v2, v3, 1.0
	v_fmac_f32_e32 v3, v4, v3
	v_mul_f32_e32 v4, v9, v3
	v_fma_f32 v10, -v2, v4, v9
	v_fmac_f32_e32 v4, v10, v3
	v_fma_f32 v2, -v2, v4, v9
	v_div_fmas_f32 v2, v2, v3, v4
	v_mov_b32_e32 v3, s24
	v_div_fixup_f32 v2, v2, v8, 1.0
	ds_write_b32 v3, v2
.LBB2_18:                               ;   in Loop: Header=BB2_8 Depth=1
	s_xor_b32 s26, exec_lo, -1
.LBB2_19:                               ;   in Loop: Header=BB2_8 Depth=1
	s_or_b32 exec_lo, exec_lo, s1
	s_and_b32 s26, s26, exec_lo
.LBB2_20:                               ;   in Loop: Header=BB2_8 Depth=1
	s_or_b32 exec_lo, exec_lo, s27
.LBB2_21:                               ;   in Loop: Header=BB2_8 Depth=1
	s_mov_b32 s1, 4
.LBB2_22:                               ;   in Loop: Header=BB2_8 Depth=1
	v_mov_b32_e32 v2, s1
	v_mov_b32_e32 v3, v6
	s_and_saveexec_b32 s0, s26
	s_cbranch_execz .LBB2_34
.LBB2_23:                               ;   in Loop: Header=BB2_8 Depth=1
	v_ashrrev_i32_e32 v2, 31, v1
	s_mov_b32 s1, exec_lo
	v_lshlrev_b64 v[1:2], 2, v[1:2]
	v_add_co_u32 v3, vcc_lo, s14, v1
	v_add_co_ci_u32_e64 v4, null, s15, v2, vcc_lo
	global_load_dword v9, v[3:4], off glc dlc
	s_waitcnt vmcnt(0)
	v_cmpx_eq_u32_e32 0, v9
	s_cbranch_execz .LBB2_26
; %bb.24:                               ;   in Loop: Header=BB2_8 Depth=1
	s_mov_b32 s26, 0
.LBB2_25:                               ;   Parent Loop BB2_8 Depth=1
                                        ; =>  This Inner Loop Header: Depth=2
	global_load_dword v9, v[3:4], off glc dlc
	s_waitcnt vmcnt(0)
	v_cmp_ne_u32_e32 vcc_lo, 0, v9
	s_or_b32 s26, vcc_lo, s26
	s_andn2_b32 exec_lo, exec_lo, s26
	s_cbranch_execnz .LBB2_25
.LBB2_26:                               ;   in Loop: Header=BB2_8 Depth=1
	s_or_b32 exec_lo, exec_lo, s1
	v_add_co_u32 v1, vcc_lo, s12, v1
	v_add_co_ci_u32_e64 v2, null, s13, v2, vcc_lo
	s_waitcnt lgkmcnt(0)
	s_waitcnt_vscnt null, 0x0
	buffer_gl1_inv
	buffer_gl0_inv
	s_andn2_b32 s25, s25, exec_lo
	global_load_dword v1, v[1:2], off
	v_mov_b32_e32 v2, 0
	s_waitcnt vmcnt(0)
	v_fma_f32 v3, -v8, v1, v6
	s_or_b32 exec_lo, exec_lo, s0
	s_and_saveexec_b32 s0, s25
	s_cbranch_execnz .LBB2_35
	s_branch .LBB2_38
.LBB2_27:                               ;   in Loop: Header=BB2_8 Depth=1
	s_and_b32 vcc_lo, exec_lo, s1
	s_mov_b32 s1, 4
	s_cbranch_vccz .LBB2_22
; %bb.28:                               ;   in Loop: Header=BB2_8 Depth=1
	s_cmp_eq_u32 s9, 0
	s_cbranch_scc1 .LBB2_30
; %bb.29:                               ;   in Loop: Header=BB2_8 Depth=1
	s_mov_b32 s26, -1
	s_branch .LBB2_33
.LBB2_30:                               ;   in Loop: Header=BB2_8 Depth=1
	s_mov_b32 s26, 0
	s_mov_b32 s1, exec_lo
	v_cmpx_ge_i32_e64 s16, v1
; %bb.31:                               ;   in Loop: Header=BB2_8 Depth=1
	s_mov_b32 s25, exec_lo
	s_and_b32 s26, s0, exec_lo
; %bb.32:                               ;   in Loop: Header=BB2_8 Depth=1
	s_or_b32 exec_lo, exec_lo, s1
.LBB2_33:                               ;   in Loop: Header=BB2_8 Depth=1
	s_mov_b32 s1, 2
	v_mov_b32_e32 v2, s1
	v_mov_b32_e32 v3, v6
	s_and_saveexec_b32 s0, s26
	s_cbranch_execnz .LBB2_23
.LBB2_34:                               ;   in Loop: Header=BB2_8 Depth=1
	s_or_b32 exec_lo, exec_lo, s0
	s_and_saveexec_b32 s0, s25
	s_cbranch_execz .LBB2_38
.LBB2_35:                               ;   in Loop: Header=BB2_8 Depth=1
	s_andn2_b32 vcc_lo, exec_lo, s21
	s_cbranch_vccnz .LBB2_37
; %bb.36:                               ;   in Loop: Header=BB2_8 Depth=1
	v_div_scale_f32 v1, null, v8, v8, 1.0
	v_div_scale_f32 v4, vcc_lo, 1.0, v8, 1.0
	v_rcp_f32_e32 v2, v1
	v_fma_f32 v3, -v1, v2, 1.0
	v_fmac_f32_e32 v2, v3, v2
	v_mul_f32_e32 v3, v4, v2
	v_fma_f32 v9, -v1, v3, v4
	v_fmac_f32_e32 v3, v9, v2
	v_fma_f32 v1, -v1, v3, v4
	v_div_fmas_f32 v1, v1, v2, v3
	v_mov_b32_e32 v2, s24
	v_div_fixup_f32 v1, v1, v8, 1.0
	ds_write_b32 v2, v1
.LBB2_37:                               ;   in Loop: Header=BB2_8 Depth=1
	v_mov_b32_e32 v2, 2
	v_mov_b32_e32 v3, v6
.LBB2_38:                               ;   in Loop: Header=BB2_8 Depth=1
	s_or_b32 exec_lo, exec_lo, s0
	v_mov_b32_e32 v6, v3
	s_mov_b32 s0, -1
	s_mov_b32 s1, -1
	s_mov_b32 s25, exec_lo
	v_cmpx_gt_i32_e32 4, v2
; %bb.39:                               ;   in Loop: Header=BB2_8 Depth=1
	v_cmp_eq_u32_e32 vcc_lo, 0, v2
	s_orn2_b32 s1, vcc_lo, exec_lo
; %bb.40:                               ;   in Loop: Header=BB2_8 Depth=1
	s_or_b32 exec_lo, exec_lo, s25
	s_and_saveexec_b32 s25, s1
	s_cbranch_execz .LBB2_7
; %bb.41:                               ;   in Loop: Header=BB2_8 Depth=1
	v_add_nc_u32_e32 v0, 64, v0
	v_cmp_le_i32_e32 vcc_lo, s20, v0
	s_orn2_b32 s0, vcc_lo, exec_lo
	s_branch .LBB2_7
.LBB2_42:
	s_or_b32 exec_lo, exec_lo, s22
.LBB2_43:
	s_or_b32 exec_lo, exec_lo, s17
	v_mbcnt_lo_u32_b32 v0, -1, 0
	s_cmp_lg_u32 s10, 0
	v_or_b32_e32 v1, 32, v0
	v_xor_b32_e32 v2, 16, v0
	v_xor_b32_e32 v3, 8, v0
	v_cmp_gt_i32_e32 vcc_lo, 32, v1
	v_cndmask_b32_e32 v1, v0, v1, vcc_lo
	v_cmp_gt_i32_e32 vcc_lo, 32, v2
	v_lshlrev_b32_e32 v1, 2, v1
	v_cndmask_b32_e32 v2, v0, v2, vcc_lo
	v_cmp_gt_i32_e32 vcc_lo, 32, v3
	ds_bpermute_b32 v1, v1, v6
	v_lshlrev_b32_e32 v2, 2, v2
	v_cndmask_b32_e32 v3, v0, v3, vcc_lo
	v_lshlrev_b32_e32 v3, 2, v3
	s_waitcnt lgkmcnt(0)
	v_add_f32_e32 v1, v6, v1
	ds_bpermute_b32 v2, v2, v1
	s_waitcnt lgkmcnt(0)
	v_add_f32_e32 v1, v1, v2
	ds_bpermute_b32 v2, v3, v1
	v_xor_b32_e32 v3, 4, v0
	v_cmp_gt_i32_e32 vcc_lo, 32, v3
	v_cndmask_b32_e32 v3, v0, v3, vcc_lo
	v_lshlrev_b32_e32 v3, 2, v3
	s_waitcnt lgkmcnt(0)
	v_add_f32_e32 v1, v1, v2
	ds_bpermute_b32 v2, v3, v1
	v_xor_b32_e32 v3, 2, v0
	v_cmp_gt_i32_e32 vcc_lo, 32, v3
	v_cndmask_b32_e32 v3, v0, v3, vcc_lo
	v_lshlrev_b32_e32 v3, 2, v3
	;; [unrolled: 7-line block ×3, first 2 shown]
	s_waitcnt lgkmcnt(0)
	v_add_f32_e32 v1, v1, v2
	ds_bpermute_b32 v0, v0, v1
	s_waitcnt lgkmcnt(0)
	v_add_f32_e32 v0, v1, v0
	s_cbranch_scc1 .LBB2_45
; %bb.44:
	s_lshl_b32 s0, s11, 2
	s_waitcnt_vscnt null, 0x0
	buffer_gl0_inv
	v_mov_b32_e32 v1, s0
	ds_read_b32 v1, v1
	s_waitcnt lgkmcnt(0)
	v_mul_f32_e32 v0, v0, v1
.LBB2_45:
	s_mov_b32 s0, exec_lo
	v_cmpx_eq_u32_e32 63, v5
	s_cbranch_execz .LBB2_47
; %bb.46:
	v_mov_b32_e32 v1, 0
	s_add_u32 s0, s12, s2
	v_mov_b32_e32 v2, 1
	s_addc_u32 s1, s13, s3
	s_add_u32 s2, s14, s2
	s_addc_u32 s3, s15, s3
	global_store_dword v1, v0, s[0:1] glc slc
	s_waitcnt_vscnt null, 0x0
	global_store_dword v1, v2, s[2:3]
.LBB2_47:
	s_endpgm
	.section	.rodata,"a",@progbits
	.p2align	6, 0x0
	.amdhsa_kernel _ZN9rocsparseL12csrsv_kernelILj1024ELj64ELb0EiifEEvT3_NS_24const_host_device_scalarIT4_EEPKT2_PKS1_PKS3_SB_lPS3_PiS9_iPS1_21rocsparse_index_base_20rocsparse_fill_mode_20rocsparse_diag_type_b
		.amdhsa_group_segment_fixed_size 64
		.amdhsa_private_segment_fixed_size 0
		.amdhsa_kernarg_size 112
		.amdhsa_user_sgpr_count 6
		.amdhsa_user_sgpr_private_segment_buffer 1
		.amdhsa_user_sgpr_dispatch_ptr 0
		.amdhsa_user_sgpr_queue_ptr 0
		.amdhsa_user_sgpr_kernarg_segment_ptr 1
		.amdhsa_user_sgpr_dispatch_id 0
		.amdhsa_user_sgpr_flat_scratch_init 0
		.amdhsa_user_sgpr_private_segment_size 0
		.amdhsa_wavefront_size32 1
		.amdhsa_uses_dynamic_stack 0
		.amdhsa_system_sgpr_private_segment_wavefront_offset 0
		.amdhsa_system_sgpr_workgroup_id_x 1
		.amdhsa_system_sgpr_workgroup_id_y 0
		.amdhsa_system_sgpr_workgroup_id_z 0
		.amdhsa_system_sgpr_workgroup_info 0
		.amdhsa_system_vgpr_workitem_id 0
		.amdhsa_next_free_vgpr 11
		.amdhsa_next_free_sgpr 28
		.amdhsa_reserve_vcc 1
		.amdhsa_reserve_flat_scratch 0
		.amdhsa_float_round_mode_32 0
		.amdhsa_float_round_mode_16_64 0
		.amdhsa_float_denorm_mode_32 3
		.amdhsa_float_denorm_mode_16_64 3
		.amdhsa_dx10_clamp 1
		.amdhsa_ieee_mode 1
		.amdhsa_fp16_overflow 0
		.amdhsa_workgroup_processor_mode 1
		.amdhsa_memory_ordered 1
		.amdhsa_forward_progress 1
		.amdhsa_shared_vgpr_count 0
		.amdhsa_exception_fp_ieee_invalid_op 0
		.amdhsa_exception_fp_denorm_src 0
		.amdhsa_exception_fp_ieee_div_zero 0
		.amdhsa_exception_fp_ieee_overflow 0
		.amdhsa_exception_fp_ieee_underflow 0
		.amdhsa_exception_fp_ieee_inexact 0
		.amdhsa_exception_int_div_zero 0
	.end_amdhsa_kernel
	.section	.text._ZN9rocsparseL12csrsv_kernelILj1024ELj64ELb0EiifEEvT3_NS_24const_host_device_scalarIT4_EEPKT2_PKS1_PKS3_SB_lPS3_PiS9_iPS1_21rocsparse_index_base_20rocsparse_fill_mode_20rocsparse_diag_type_b,"axG",@progbits,_ZN9rocsparseL12csrsv_kernelILj1024ELj64ELb0EiifEEvT3_NS_24const_host_device_scalarIT4_EEPKT2_PKS1_PKS3_SB_lPS3_PiS9_iPS1_21rocsparse_index_base_20rocsparse_fill_mode_20rocsparse_diag_type_b,comdat
.Lfunc_end2:
	.size	_ZN9rocsparseL12csrsv_kernelILj1024ELj64ELb0EiifEEvT3_NS_24const_host_device_scalarIT4_EEPKT2_PKS1_PKS3_SB_lPS3_PiS9_iPS1_21rocsparse_index_base_20rocsparse_fill_mode_20rocsparse_diag_type_b, .Lfunc_end2-_ZN9rocsparseL12csrsv_kernelILj1024ELj64ELb0EiifEEvT3_NS_24const_host_device_scalarIT4_EEPKT2_PKS1_PKS3_SB_lPS3_PiS9_iPS1_21rocsparse_index_base_20rocsparse_fill_mode_20rocsparse_diag_type_b
                                        ; -- End function
	.set _ZN9rocsparseL12csrsv_kernelILj1024ELj64ELb0EiifEEvT3_NS_24const_host_device_scalarIT4_EEPKT2_PKS1_PKS3_SB_lPS3_PiS9_iPS1_21rocsparse_index_base_20rocsparse_fill_mode_20rocsparse_diag_type_b.num_vgpr, 11
	.set _ZN9rocsparseL12csrsv_kernelILj1024ELj64ELb0EiifEEvT3_NS_24const_host_device_scalarIT4_EEPKT2_PKS1_PKS3_SB_lPS3_PiS9_iPS1_21rocsparse_index_base_20rocsparse_fill_mode_20rocsparse_diag_type_b.num_agpr, 0
	.set _ZN9rocsparseL12csrsv_kernelILj1024ELj64ELb0EiifEEvT3_NS_24const_host_device_scalarIT4_EEPKT2_PKS1_PKS3_SB_lPS3_PiS9_iPS1_21rocsparse_index_base_20rocsparse_fill_mode_20rocsparse_diag_type_b.numbered_sgpr, 28
	.set _ZN9rocsparseL12csrsv_kernelILj1024ELj64ELb0EiifEEvT3_NS_24const_host_device_scalarIT4_EEPKT2_PKS1_PKS3_SB_lPS3_PiS9_iPS1_21rocsparse_index_base_20rocsparse_fill_mode_20rocsparse_diag_type_b.num_named_barrier, 0
	.set _ZN9rocsparseL12csrsv_kernelILj1024ELj64ELb0EiifEEvT3_NS_24const_host_device_scalarIT4_EEPKT2_PKS1_PKS3_SB_lPS3_PiS9_iPS1_21rocsparse_index_base_20rocsparse_fill_mode_20rocsparse_diag_type_b.private_seg_size, 0
	.set _ZN9rocsparseL12csrsv_kernelILj1024ELj64ELb0EiifEEvT3_NS_24const_host_device_scalarIT4_EEPKT2_PKS1_PKS3_SB_lPS3_PiS9_iPS1_21rocsparse_index_base_20rocsparse_fill_mode_20rocsparse_diag_type_b.uses_vcc, 1
	.set _ZN9rocsparseL12csrsv_kernelILj1024ELj64ELb0EiifEEvT3_NS_24const_host_device_scalarIT4_EEPKT2_PKS1_PKS3_SB_lPS3_PiS9_iPS1_21rocsparse_index_base_20rocsparse_fill_mode_20rocsparse_diag_type_b.uses_flat_scratch, 0
	.set _ZN9rocsparseL12csrsv_kernelILj1024ELj64ELb0EiifEEvT3_NS_24const_host_device_scalarIT4_EEPKT2_PKS1_PKS3_SB_lPS3_PiS9_iPS1_21rocsparse_index_base_20rocsparse_fill_mode_20rocsparse_diag_type_b.has_dyn_sized_stack, 0
	.set _ZN9rocsparseL12csrsv_kernelILj1024ELj64ELb0EiifEEvT3_NS_24const_host_device_scalarIT4_EEPKT2_PKS1_PKS3_SB_lPS3_PiS9_iPS1_21rocsparse_index_base_20rocsparse_fill_mode_20rocsparse_diag_type_b.has_recursion, 0
	.set _ZN9rocsparseL12csrsv_kernelILj1024ELj64ELb0EiifEEvT3_NS_24const_host_device_scalarIT4_EEPKT2_PKS1_PKS3_SB_lPS3_PiS9_iPS1_21rocsparse_index_base_20rocsparse_fill_mode_20rocsparse_diag_type_b.has_indirect_call, 0
	.section	.AMDGPU.csdata,"",@progbits
; Kernel info:
; codeLenInByte = 1456
; TotalNumSgprs: 30
; NumVgprs: 11
; ScratchSize: 0
; MemoryBound: 0
; FloatMode: 240
; IeeeMode: 1
; LDSByteSize: 64 bytes/workgroup (compile time only)
; SGPRBlocks: 0
; VGPRBlocks: 1
; NumSGPRsForWavesPerEU: 30
; NumVGPRsForWavesPerEU: 11
; Occupancy: 16
; WaveLimiterHint : 1
; COMPUTE_PGM_RSRC2:SCRATCH_EN: 0
; COMPUTE_PGM_RSRC2:USER_SGPR: 6
; COMPUTE_PGM_RSRC2:TRAP_HANDLER: 0
; COMPUTE_PGM_RSRC2:TGID_X_EN: 1
; COMPUTE_PGM_RSRC2:TGID_Y_EN: 0
; COMPUTE_PGM_RSRC2:TGID_Z_EN: 0
; COMPUTE_PGM_RSRC2:TIDIG_COMP_CNT: 0
	.section	.text._ZN9rocsparseL12csrsv_kernelILj1024ELj64ELb1EiidEEvT3_NS_24const_host_device_scalarIT4_EEPKT2_PKS1_PKS3_SB_lPS3_PiS9_iPS1_21rocsparse_index_base_20rocsparse_fill_mode_20rocsparse_diag_type_b,"axG",@progbits,_ZN9rocsparseL12csrsv_kernelILj1024ELj64ELb1EiidEEvT3_NS_24const_host_device_scalarIT4_EEPKT2_PKS1_PKS3_SB_lPS3_PiS9_iPS1_21rocsparse_index_base_20rocsparse_fill_mode_20rocsparse_diag_type_b,comdat
	.globl	_ZN9rocsparseL12csrsv_kernelILj1024ELj64ELb1EiidEEvT3_NS_24const_host_device_scalarIT4_EEPKT2_PKS1_PKS3_SB_lPS3_PiS9_iPS1_21rocsparse_index_base_20rocsparse_fill_mode_20rocsparse_diag_type_b ; -- Begin function _ZN9rocsparseL12csrsv_kernelILj1024ELj64ELb1EiidEEvT3_NS_24const_host_device_scalarIT4_EEPKT2_PKS1_PKS3_SB_lPS3_PiS9_iPS1_21rocsparse_index_base_20rocsparse_fill_mode_20rocsparse_diag_type_b
	.p2align	8
	.type	_ZN9rocsparseL12csrsv_kernelILj1024ELj64ELb1EiidEEvT3_NS_24const_host_device_scalarIT4_EEPKT2_PKS1_PKS3_SB_lPS3_PiS9_iPS1_21rocsparse_index_base_20rocsparse_fill_mode_20rocsparse_diag_type_b,@function
_ZN9rocsparseL12csrsv_kernelILj1024ELj64ELb1EiidEEvT3_NS_24const_host_device_scalarIT4_EEPKT2_PKS1_PKS3_SB_lPS3_PiS9_iPS1_21rocsparse_index_base_20rocsparse_fill_mode_20rocsparse_diag_type_b: ; @_ZN9rocsparseL12csrsv_kernelILj1024ELj64ELb1EiidEEvT3_NS_24const_host_device_scalarIT4_EEPKT2_PKS1_PKS3_SB_lPS3_PiS9_iPS1_21rocsparse_index_base_20rocsparse_fill_mode_20rocsparse_diag_type_b
; %bb.0:
	s_clause 0x1
	s_load_dwordx4 s[8:11], s[4:5], 0x60
	s_load_dwordx2 s[0:1], s[4:5], 0x8
	s_waitcnt lgkmcnt(0)
	s_bitcmp1_b32 s11, 0
	v_mov_b32_e32 v3, s1
	v_mov_b32_e32 v2, s0
	s_cselect_b32 s2, -1, 0
	s_and_b32 vcc_lo, exec_lo, s2
	s_cbranch_vccnz .LBB3_2
; %bb.1:
	v_mov_b32_e32 v2, s1
	v_mov_b32_e32 v1, s0
	flat_load_dwordx2 v[2:3], v[1:2]
.LBB3_2:
	s_load_dword s1, s[4:5], 0x0
	v_readfirstlane_b32 s0, v0
	s_lshr_b32 s11, s0, 6
	s_lshl_b32 s0, s6, 4
	s_add_i32 s0, s11, s0
	s_waitcnt lgkmcnt(0)
	s_cmp_ge_i32 s0, s1
	s_cbranch_scc1 .LBB3_49
; %bb.3:
	s_clause 0x2
	s_load_dword s1, s[4:5], 0x50
	s_load_dwordx2 s[2:3], s[4:5], 0x48
	s_load_dwordx4 s[12:15], s[4:5], 0x38
	v_and_b32_e32 v9, 63, v0
	v_mov_b32_e32 v0, 0
	v_mov_b32_e32 v1, 0
	s_mov_b32 s6, exec_lo
	s_waitcnt lgkmcnt(0)
	s_add_i32 s0, s0, s1
	s_ashr_i32 s1, s0, 31
	s_lshl_b64 s[0:1], s[0:1], 2
	s_add_u32 s0, s2, s0
	s_addc_u32 s1, s3, s1
	s_load_dword s16, s[0:1], 0x0
	s_load_dwordx2 s[0:1], s[4:5], 0x10
	s_waitcnt lgkmcnt(0)
	s_ashr_i32 s17, s16, 31
	s_lshl_b64 s[2:3], s[16:17], 2
	s_add_u32 s0, s0, s2
	s_addc_u32 s1, s1, s3
	s_load_dwordx2 s[0:1], s[0:1], 0x0
	v_cmpx_eq_u32_e32 0, v9
	s_cbranch_execz .LBB3_5
; %bb.4:
	s_load_dwordx4 s[20:23], s[4:5], 0x28
	s_waitcnt lgkmcnt(0)
	s_mul_i32 s7, s22, s17
	s_mul_hi_u32 s18, s22, s16
	s_mul_i32 s19, s23, s16
	s_add_i32 s7, s18, s7
	s_mul_i32 s18, s22, s16
	s_add_i32 s19, s7, s19
	s_lshl_b64 s[18:19], s[18:19], 3
	s_add_u32 s18, s20, s18
	s_addc_u32 s19, s21, s19
	s_load_dwordx2 s[18:19], s[18:19], 0x0
	s_waitcnt vmcnt(0) lgkmcnt(0)
	v_mul_f64 v[0:1], v[2:3], s[18:19]
.LBB3_5:
	s_or_b32 exec_lo, exec_lo, s6
	s_waitcnt vmcnt(0)
	v_subrev_nc_u32_e32 v2, s8, v9
	s_waitcnt lgkmcnt(0)
	s_sub_i32 s21, s1, s8
	s_mov_b32 s20, exec_lo
	v_add_nc_u32_e32 v2, s0, v2
	v_cmpx_gt_i32_e64 s21, v2
	s_cbranch_execz .LBB3_45
; %bb.6:
	s_clause 0x1
	s_load_dwordx2 s[18:19], s[4:5], 0x58
	s_load_dwordx4 s[4:7], s[4:5], 0x18
	v_mov_b32_e32 v10, 0
	s_cmp_eq_u32 s10, 0
	s_mov_b32 s23, 0
	s_cselect_b32 s22, -1, 0
	s_add_i32 s24, s16, s8
	s_lshl_b32 s25, s11, 3
	s_branch .LBB3_8
.LBB3_7:                                ;   in Loop: Header=BB3_8 Depth=1
	s_or_b32 exec_lo, exec_lo, s26
	s_and_b32 s0, exec_lo, s0
	s_or_b32 s23, s0, s23
	s_andn2_b32 exec_lo, exec_lo, s23
	s_cbranch_execz .LBB3_44
.LBB3_8:                                ; =>This Loop Header: Depth=1
                                        ;     Child Loop BB3_33 Depth 2
                                        ;       Child Loop BB3_34 Depth 3
	v_ashrrev_i32_e32 v3, 31, v2
	v_lshlrev_b64 v[4:5], 3, v[2:3]
	v_lshlrev_b64 v[6:7], 2, v[2:3]
	s_waitcnt lgkmcnt(0)
	v_add_co_u32 v4, vcc_lo, s6, v4
	v_add_co_ci_u32_e64 v5, null, s7, v5, vcc_lo
	global_load_dwordx2 v[3:4], v[4:5], off slc
	v_add_co_u32 v5, vcc_lo, s4, v6
	v_add_co_ci_u32_e64 v6, null, s5, v7, vcc_lo
	global_load_dword v5, v[5:6], off slc
	s_waitcnt vmcnt(1)
	v_cmp_eq_f64_e64 s1, 0, v[3:4]
	s_waitcnt vmcnt(0)
	v_subrev_nc_u32_e32 v5, s8, v5
	v_cmp_eq_u32_e32 vcc_lo, s16, v5
	v_cmp_ne_u32_e64 s0, s16, v5
	s_and_b32 s26, s22, vcc_lo
	s_and_b32 s1, s1, s26
	s_and_saveexec_b32 s26, s1
	s_cbranch_execz .LBB3_12
; %bb.9:                                ;   in Loop: Header=BB3_8 Depth=1
	v_mbcnt_lo_u32_b32 v3, exec_lo, 0
	s_mov_b32 s27, exec_lo
	v_cmpx_eq_u32_e32 0, v3
	s_cbranch_execz .LBB3_11
; %bb.10:                               ;   in Loop: Header=BB3_8 Depth=1
	v_mov_b32_e32 v3, s24
	global_atomic_smin v10, v3, s[18:19]
.LBB3_11:                               ;   in Loop: Header=BB3_8 Depth=1
	s_or_b32 exec_lo, exec_lo, s27
	v_mov_b32_e32 v3, 0
	v_mov_b32_e32 v4, 0x3ff00000
.LBB3_12:                               ;   in Loop: Header=BB3_8 Depth=1
	s_or_b32 exec_lo, exec_lo, s26
	s_mov_b32 s1, -1
	s_mov_b32 s26, 0
	s_cmp_lt_i32 s9, 1
	s_mov_b32 s27, 0
	s_cbranch_scc1 .LBB3_22
; %bb.13:                               ;   in Loop: Header=BB3_8 Depth=1
	s_cmp_eq_u32 s9, 1
	s_mov_b32 s27, -1
	s_cbranch_scc0 .LBB3_21
; %bb.14:                               ;   in Loop: Header=BB3_8 Depth=1
	s_mov_b32 s27, 0
	s_mov_b32 s28, exec_lo
	v_cmpx_le_i32_e64 s16, v5
	s_cbranch_execz .LBB3_20
; %bb.15:                               ;   in Loop: Header=BB3_8 Depth=1
	s_mov_b32 s27, -1
	s_and_saveexec_b32 s1, vcc_lo
	s_xor_b32 s1, exec_lo, s1
	s_cbranch_execz .LBB3_19
; %bb.16:                               ;   in Loop: Header=BB3_8 Depth=1
	s_andn2_b32 vcc_lo, exec_lo, s22
	s_cbranch_vccnz .LBB3_18
; %bb.17:                               ;   in Loop: Header=BB3_8 Depth=1
	v_div_scale_f64 v[6:7], null, v[3:4], v[3:4], 1.0
	v_mov_b32_e32 v8, s25
	v_rcp_f64_e32 v[11:12], v[6:7]
	v_fma_f64 v[13:14], -v[6:7], v[11:12], 1.0
	v_fma_f64 v[11:12], v[11:12], v[13:14], v[11:12]
	v_fma_f64 v[13:14], -v[6:7], v[11:12], 1.0
	v_fma_f64 v[11:12], v[11:12], v[13:14], v[11:12]
	v_div_scale_f64 v[13:14], vcc_lo, 1.0, v[3:4], 1.0
	v_mul_f64 v[15:16], v[13:14], v[11:12]
	v_fma_f64 v[6:7], -v[6:7], v[15:16], v[13:14]
	v_div_fmas_f64 v[6:7], v[6:7], v[11:12], v[15:16]
	v_div_fixup_f64 v[6:7], v[6:7], v[3:4], 1.0
	ds_write_b64 v8, v[6:7]
.LBB3_18:                               ;   in Loop: Header=BB3_8 Depth=1
	s_xor_b32 s27, exec_lo, -1
.LBB3_19:                               ;   in Loop: Header=BB3_8 Depth=1
	s_or_b32 exec_lo, exec_lo, s1
	s_and_b32 s27, s27, exec_lo
.LBB3_20:                               ;   in Loop: Header=BB3_8 Depth=1
	s_or_b32 exec_lo, exec_lo, s28
.LBB3_21:                               ;   in Loop: Header=BB3_8 Depth=1
	s_mov_b32 s1, 0
.LBB3_22:                               ;   in Loop: Header=BB3_8 Depth=1
	s_and_b32 vcc_lo, exec_lo, s1
	s_mov_b32 s1, 4
	s_cbranch_vccz .LBB3_29
; %bb.23:                               ;   in Loop: Header=BB3_8 Depth=1
	s_cmp_eq_u32 s9, 0
	s_cbranch_scc1 .LBB3_25
; %bb.24:                               ;   in Loop: Header=BB3_8 Depth=1
	s_mov_b32 s27, -1
	s_branch .LBB3_28
.LBB3_25:                               ;   in Loop: Header=BB3_8 Depth=1
	s_mov_b32 s27, 0
	s_mov_b32 s1, exec_lo
	v_cmpx_ge_i32_e64 s16, v5
; %bb.26:                               ;   in Loop: Header=BB3_8 Depth=1
	s_mov_b32 s26, exec_lo
	s_and_b32 s27, s0, exec_lo
; %bb.27:                               ;   in Loop: Header=BB3_8 Depth=1
	s_or_b32 exec_lo, exec_lo, s1
.LBB3_28:                               ;   in Loop: Header=BB3_8 Depth=1
	s_mov_b32 s1, 2
.LBB3_29:                               ;   in Loop: Header=BB3_8 Depth=1
	v_mov_b32_e32 v7, v1
	v_mov_b32_e32 v8, s1
	v_mov_b32_e32 v6, v0
	s_and_saveexec_b32 s0, s27
	s_cbranch_execz .LBB3_36
; %bb.30:                               ;   in Loop: Header=BB3_8 Depth=1
	v_ashrrev_i32_e32 v6, 31, v5
	s_mov_b32 s1, exec_lo
	v_lshlrev_b64 v[7:8], 2, v[5:6]
	v_add_co_u32 v7, vcc_lo, s14, v7
	v_add_co_ci_u32_e64 v8, null, s15, v8, vcc_lo
	global_load_dword v11, v[7:8], off glc dlc
	s_waitcnt vmcnt(0)
	v_cmpx_eq_u32_e32 0, v11
	s_cbranch_execz .LBB3_35
; %bb.31:                               ;   in Loop: Header=BB3_8 Depth=1
	s_mov_b32 s27, 0
	s_mov_b32 s28, 0
	s_branch .LBB3_33
	.p2align	6
.LBB3_32:                               ;   in Loop: Header=BB3_33 Depth=2
	global_load_dword v11, v[7:8], off glc dlc
	s_cmpk_lt_u32 s28, 0xf43
	s_cselect_b32 s29, -1, 0
	s_cmp_lg_u32 s29, 0
	s_addc_u32 s28, s28, 0
	s_waitcnt vmcnt(0)
	v_cmp_ne_u32_e32 vcc_lo, 0, v11
	s_or_b32 s27, vcc_lo, s27
	s_andn2_b32 exec_lo, exec_lo, s27
	s_cbranch_execz .LBB3_35
.LBB3_33:                               ;   Parent Loop BB3_8 Depth=1
                                        ; =>  This Loop Header: Depth=2
                                        ;       Child Loop BB3_34 Depth 3
	s_cmp_eq_u32 s28, 0
	s_mov_b32 s29, s28
	s_cbranch_scc1 .LBB3_32
.LBB3_34:                               ;   Parent Loop BB3_8 Depth=1
                                        ;     Parent Loop BB3_33 Depth=2
                                        ; =>    This Inner Loop Header: Depth=3
	s_add_i32 s29, s29, -1
	s_sleep 1
	s_cmp_eq_u32 s29, 0
	s_cbranch_scc0 .LBB3_34
	s_branch .LBB3_32
.LBB3_35:                               ;   in Loop: Header=BB3_8 Depth=1
	s_or_b32 exec_lo, exec_lo, s1
	v_lshlrev_b64 v[5:6], 3, v[5:6]
	s_waitcnt lgkmcnt(0)
	s_waitcnt_vscnt null, 0x0
	buffer_gl1_inv
	buffer_gl0_inv
	v_mov_b32_e32 v8, 0
	s_andn2_b32 s26, s26, exec_lo
	v_add_co_u32 v5, vcc_lo, s12, v5
	v_add_co_ci_u32_e64 v6, null, s13, v6, vcc_lo
	global_load_dwordx2 v[5:6], v[5:6], off
	s_waitcnt vmcnt(0)
	v_fma_f64 v[6:7], -v[3:4], v[5:6], v[0:1]
.LBB3_36:                               ;   in Loop: Header=BB3_8 Depth=1
	s_or_b32 exec_lo, exec_lo, s0
	s_and_saveexec_b32 s0, s26
	s_cbranch_execz .LBB3_40
; %bb.37:                               ;   in Loop: Header=BB3_8 Depth=1
	s_andn2_b32 vcc_lo, exec_lo, s22
	s_cbranch_vccnz .LBB3_39
; %bb.38:                               ;   in Loop: Header=BB3_8 Depth=1
	v_div_scale_f64 v[5:6], null, v[3:4], v[3:4], 1.0
	v_rcp_f64_e32 v[7:8], v[5:6]
	v_fma_f64 v[11:12], -v[5:6], v[7:8], 1.0
	v_fma_f64 v[7:8], v[7:8], v[11:12], v[7:8]
	v_fma_f64 v[11:12], -v[5:6], v[7:8], 1.0
	v_fma_f64 v[7:8], v[7:8], v[11:12], v[7:8]
	v_div_scale_f64 v[11:12], vcc_lo, 1.0, v[3:4], 1.0
	v_mul_f64 v[13:14], v[11:12], v[7:8]
	v_fma_f64 v[5:6], -v[5:6], v[13:14], v[11:12]
	v_div_fmas_f64 v[5:6], v[5:6], v[7:8], v[13:14]
	v_div_fixup_f64 v[3:4], v[5:6], v[3:4], 1.0
	v_mov_b32_e32 v5, s25
	ds_write_b64 v5, v[3:4]
.LBB3_39:                               ;   in Loop: Header=BB3_8 Depth=1
	v_mov_b32_e32 v7, v1
	v_mov_b32_e32 v8, 2
	;; [unrolled: 1-line block ×3, first 2 shown]
.LBB3_40:                               ;   in Loop: Header=BB3_8 Depth=1
	s_or_b32 exec_lo, exec_lo, s0
	v_mov_b32_e32 v0, v6
	v_mov_b32_e32 v1, v7
	s_mov_b32 s0, -1
	s_mov_b32 s1, -1
	s_mov_b32 s26, exec_lo
	v_cmpx_gt_i32_e32 4, v8
; %bb.41:                               ;   in Loop: Header=BB3_8 Depth=1
	v_cmp_eq_u32_e32 vcc_lo, 0, v8
	s_orn2_b32 s1, vcc_lo, exec_lo
; %bb.42:                               ;   in Loop: Header=BB3_8 Depth=1
	s_or_b32 exec_lo, exec_lo, s26
	s_and_saveexec_b32 s26, s1
	s_cbranch_execz .LBB3_7
; %bb.43:                               ;   in Loop: Header=BB3_8 Depth=1
	v_add_nc_u32_e32 v2, 64, v2
	v_cmp_le_i32_e32 vcc_lo, s21, v2
	s_orn2_b32 s0, vcc_lo, exec_lo
	s_branch .LBB3_7
.LBB3_44:
	s_or_b32 exec_lo, exec_lo, s23
.LBB3_45:
	s_or_b32 exec_lo, exec_lo, s20
	v_mbcnt_lo_u32_b32 v4, -1, 0
	s_cmp_lg_u32 s10, 0
	v_or_b32_e32 v2, 32, v4
	v_cmp_gt_i32_e32 vcc_lo, 32, v2
	v_cndmask_b32_e32 v2, v4, v2, vcc_lo
	v_lshlrev_b32_e32 v3, 2, v2
	ds_bpermute_b32 v2, v3, v0
	ds_bpermute_b32 v3, v3, v1
	s_waitcnt lgkmcnt(0)
	v_add_f64 v[0:1], v[0:1], v[2:3]
	v_xor_b32_e32 v2, 16, v4
	v_cmp_gt_i32_e32 vcc_lo, 32, v2
	v_cndmask_b32_e32 v2, v4, v2, vcc_lo
	v_lshlrev_b32_e32 v3, 2, v2
	ds_bpermute_b32 v2, v3, v0
	ds_bpermute_b32 v3, v3, v1
	s_waitcnt lgkmcnt(0)
	v_add_f64 v[0:1], v[0:1], v[2:3]
	v_xor_b32_e32 v2, 8, v4
	;; [unrolled: 8-line block ×5, first 2 shown]
	v_cmp_gt_i32_e32 vcc_lo, 32, v2
	v_cndmask_b32_e32 v2, v4, v2, vcc_lo
	v_lshlrev_b32_e32 v3, 2, v2
	ds_bpermute_b32 v2, v3, v0
	ds_bpermute_b32 v3, v3, v1
	s_waitcnt lgkmcnt(0)
	v_add_f64 v[0:1], v[0:1], v[2:3]
	s_cbranch_scc1 .LBB3_47
; %bb.46:
	s_lshl_b32 s0, s11, 3
	s_waitcnt_vscnt null, 0x0
	buffer_gl0_inv
	v_mov_b32_e32 v2, s0
	ds_read_b64 v[2:3], v2
	s_waitcnt lgkmcnt(0)
	v_mul_f64 v[0:1], v[0:1], v[2:3]
.LBB3_47:
	s_mov_b32 s0, exec_lo
	v_cmpx_eq_u32_e32 63, v9
	s_cbranch_execz .LBB3_49
; %bb.48:
	s_lshl_b64 s[0:1], s[16:17], 3
	v_mov_b32_e32 v2, 0
	s_add_u32 s0, s12, s0
	v_mov_b32_e32 v3, 1
	s_addc_u32 s1, s13, s1
	s_add_u32 s2, s14, s2
	s_addc_u32 s3, s15, s3
	global_store_dwordx2 v2, v[0:1], s[0:1] glc slc
	s_waitcnt_vscnt null, 0x0
	global_store_dword v2, v3, s[2:3]
.LBB3_49:
	s_endpgm
	.section	.rodata,"a",@progbits
	.p2align	6, 0x0
	.amdhsa_kernel _ZN9rocsparseL12csrsv_kernelILj1024ELj64ELb1EiidEEvT3_NS_24const_host_device_scalarIT4_EEPKT2_PKS1_PKS3_SB_lPS3_PiS9_iPS1_21rocsparse_index_base_20rocsparse_fill_mode_20rocsparse_diag_type_b
		.amdhsa_group_segment_fixed_size 128
		.amdhsa_private_segment_fixed_size 0
		.amdhsa_kernarg_size 112
		.amdhsa_user_sgpr_count 6
		.amdhsa_user_sgpr_private_segment_buffer 1
		.amdhsa_user_sgpr_dispatch_ptr 0
		.amdhsa_user_sgpr_queue_ptr 0
		.amdhsa_user_sgpr_kernarg_segment_ptr 1
		.amdhsa_user_sgpr_dispatch_id 0
		.amdhsa_user_sgpr_flat_scratch_init 0
		.amdhsa_user_sgpr_private_segment_size 0
		.amdhsa_wavefront_size32 1
		.amdhsa_uses_dynamic_stack 0
		.amdhsa_system_sgpr_private_segment_wavefront_offset 0
		.amdhsa_system_sgpr_workgroup_id_x 1
		.amdhsa_system_sgpr_workgroup_id_y 0
		.amdhsa_system_sgpr_workgroup_id_z 0
		.amdhsa_system_sgpr_workgroup_info 0
		.amdhsa_system_vgpr_workitem_id 0
		.amdhsa_next_free_vgpr 17
		.amdhsa_next_free_sgpr 30
		.amdhsa_reserve_vcc 1
		.amdhsa_reserve_flat_scratch 0
		.amdhsa_float_round_mode_32 0
		.amdhsa_float_round_mode_16_64 0
		.amdhsa_float_denorm_mode_32 3
		.amdhsa_float_denorm_mode_16_64 3
		.amdhsa_dx10_clamp 1
		.amdhsa_ieee_mode 1
		.amdhsa_fp16_overflow 0
		.amdhsa_workgroup_processor_mode 1
		.amdhsa_memory_ordered 1
		.amdhsa_forward_progress 1
		.amdhsa_shared_vgpr_count 0
		.amdhsa_exception_fp_ieee_invalid_op 0
		.amdhsa_exception_fp_denorm_src 0
		.amdhsa_exception_fp_ieee_div_zero 0
		.amdhsa_exception_fp_ieee_overflow 0
		.amdhsa_exception_fp_ieee_underflow 0
		.amdhsa_exception_fp_ieee_inexact 0
		.amdhsa_exception_int_div_zero 0
	.end_amdhsa_kernel
	.section	.text._ZN9rocsparseL12csrsv_kernelILj1024ELj64ELb1EiidEEvT3_NS_24const_host_device_scalarIT4_EEPKT2_PKS1_PKS3_SB_lPS3_PiS9_iPS1_21rocsparse_index_base_20rocsparse_fill_mode_20rocsparse_diag_type_b,"axG",@progbits,_ZN9rocsparseL12csrsv_kernelILj1024ELj64ELb1EiidEEvT3_NS_24const_host_device_scalarIT4_EEPKT2_PKS1_PKS3_SB_lPS3_PiS9_iPS1_21rocsparse_index_base_20rocsparse_fill_mode_20rocsparse_diag_type_b,comdat
.Lfunc_end3:
	.size	_ZN9rocsparseL12csrsv_kernelILj1024ELj64ELb1EiidEEvT3_NS_24const_host_device_scalarIT4_EEPKT2_PKS1_PKS3_SB_lPS3_PiS9_iPS1_21rocsparse_index_base_20rocsparse_fill_mode_20rocsparse_diag_type_b, .Lfunc_end3-_ZN9rocsparseL12csrsv_kernelILj1024ELj64ELb1EiidEEvT3_NS_24const_host_device_scalarIT4_EEPKT2_PKS1_PKS3_SB_lPS3_PiS9_iPS1_21rocsparse_index_base_20rocsparse_fill_mode_20rocsparse_diag_type_b
                                        ; -- End function
	.set _ZN9rocsparseL12csrsv_kernelILj1024ELj64ELb1EiidEEvT3_NS_24const_host_device_scalarIT4_EEPKT2_PKS1_PKS3_SB_lPS3_PiS9_iPS1_21rocsparse_index_base_20rocsparse_fill_mode_20rocsparse_diag_type_b.num_vgpr, 17
	.set _ZN9rocsparseL12csrsv_kernelILj1024ELj64ELb1EiidEEvT3_NS_24const_host_device_scalarIT4_EEPKT2_PKS1_PKS3_SB_lPS3_PiS9_iPS1_21rocsparse_index_base_20rocsparse_fill_mode_20rocsparse_diag_type_b.num_agpr, 0
	.set _ZN9rocsparseL12csrsv_kernelILj1024ELj64ELb1EiidEEvT3_NS_24const_host_device_scalarIT4_EEPKT2_PKS1_PKS3_SB_lPS3_PiS9_iPS1_21rocsparse_index_base_20rocsparse_fill_mode_20rocsparse_diag_type_b.numbered_sgpr, 30
	.set _ZN9rocsparseL12csrsv_kernelILj1024ELj64ELb1EiidEEvT3_NS_24const_host_device_scalarIT4_EEPKT2_PKS1_PKS3_SB_lPS3_PiS9_iPS1_21rocsparse_index_base_20rocsparse_fill_mode_20rocsparse_diag_type_b.num_named_barrier, 0
	.set _ZN9rocsparseL12csrsv_kernelILj1024ELj64ELb1EiidEEvT3_NS_24const_host_device_scalarIT4_EEPKT2_PKS1_PKS3_SB_lPS3_PiS9_iPS1_21rocsparse_index_base_20rocsparse_fill_mode_20rocsparse_diag_type_b.private_seg_size, 0
	.set _ZN9rocsparseL12csrsv_kernelILj1024ELj64ELb1EiidEEvT3_NS_24const_host_device_scalarIT4_EEPKT2_PKS1_PKS3_SB_lPS3_PiS9_iPS1_21rocsparse_index_base_20rocsparse_fill_mode_20rocsparse_diag_type_b.uses_vcc, 1
	.set _ZN9rocsparseL12csrsv_kernelILj1024ELj64ELb1EiidEEvT3_NS_24const_host_device_scalarIT4_EEPKT2_PKS1_PKS3_SB_lPS3_PiS9_iPS1_21rocsparse_index_base_20rocsparse_fill_mode_20rocsparse_diag_type_b.uses_flat_scratch, 0
	.set _ZN9rocsparseL12csrsv_kernelILj1024ELj64ELb1EiidEEvT3_NS_24const_host_device_scalarIT4_EEPKT2_PKS1_PKS3_SB_lPS3_PiS9_iPS1_21rocsparse_index_base_20rocsparse_fill_mode_20rocsparse_diag_type_b.has_dyn_sized_stack, 0
	.set _ZN9rocsparseL12csrsv_kernelILj1024ELj64ELb1EiidEEvT3_NS_24const_host_device_scalarIT4_EEPKT2_PKS1_PKS3_SB_lPS3_PiS9_iPS1_21rocsparse_index_base_20rocsparse_fill_mode_20rocsparse_diag_type_b.has_recursion, 0
	.set _ZN9rocsparseL12csrsv_kernelILj1024ELj64ELb1EiidEEvT3_NS_24const_host_device_scalarIT4_EEPKT2_PKS1_PKS3_SB_lPS3_PiS9_iPS1_21rocsparse_index_base_20rocsparse_fill_mode_20rocsparse_diag_type_b.has_indirect_call, 0
	.section	.AMDGPU.csdata,"",@progbits
; Kernel info:
; codeLenInByte = 1700
; TotalNumSgprs: 32
; NumVgprs: 17
; ScratchSize: 0
; MemoryBound: 0
; FloatMode: 240
; IeeeMode: 1
; LDSByteSize: 128 bytes/workgroup (compile time only)
; SGPRBlocks: 0
; VGPRBlocks: 2
; NumSGPRsForWavesPerEU: 32
; NumVGPRsForWavesPerEU: 17
; Occupancy: 16
; WaveLimiterHint : 1
; COMPUTE_PGM_RSRC2:SCRATCH_EN: 0
; COMPUTE_PGM_RSRC2:USER_SGPR: 6
; COMPUTE_PGM_RSRC2:TRAP_HANDLER: 0
; COMPUTE_PGM_RSRC2:TGID_X_EN: 1
; COMPUTE_PGM_RSRC2:TGID_Y_EN: 0
; COMPUTE_PGM_RSRC2:TGID_Z_EN: 0
; COMPUTE_PGM_RSRC2:TIDIG_COMP_CNT: 0
	.section	.text._ZN9rocsparseL12csrsv_kernelILj1024ELj32ELb0EiidEEvT3_NS_24const_host_device_scalarIT4_EEPKT2_PKS1_PKS3_SB_lPS3_PiS9_iPS1_21rocsparse_index_base_20rocsparse_fill_mode_20rocsparse_diag_type_b,"axG",@progbits,_ZN9rocsparseL12csrsv_kernelILj1024ELj32ELb0EiidEEvT3_NS_24const_host_device_scalarIT4_EEPKT2_PKS1_PKS3_SB_lPS3_PiS9_iPS1_21rocsparse_index_base_20rocsparse_fill_mode_20rocsparse_diag_type_b,comdat
	.globl	_ZN9rocsparseL12csrsv_kernelILj1024ELj32ELb0EiidEEvT3_NS_24const_host_device_scalarIT4_EEPKT2_PKS1_PKS3_SB_lPS3_PiS9_iPS1_21rocsparse_index_base_20rocsparse_fill_mode_20rocsparse_diag_type_b ; -- Begin function _ZN9rocsparseL12csrsv_kernelILj1024ELj32ELb0EiidEEvT3_NS_24const_host_device_scalarIT4_EEPKT2_PKS1_PKS3_SB_lPS3_PiS9_iPS1_21rocsparse_index_base_20rocsparse_fill_mode_20rocsparse_diag_type_b
	.p2align	8
	.type	_ZN9rocsparseL12csrsv_kernelILj1024ELj32ELb0EiidEEvT3_NS_24const_host_device_scalarIT4_EEPKT2_PKS1_PKS3_SB_lPS3_PiS9_iPS1_21rocsparse_index_base_20rocsparse_fill_mode_20rocsparse_diag_type_b,@function
_ZN9rocsparseL12csrsv_kernelILj1024ELj32ELb0EiidEEvT3_NS_24const_host_device_scalarIT4_EEPKT2_PKS1_PKS3_SB_lPS3_PiS9_iPS1_21rocsparse_index_base_20rocsparse_fill_mode_20rocsparse_diag_type_b: ; @_ZN9rocsparseL12csrsv_kernelILj1024ELj32ELb0EiidEEvT3_NS_24const_host_device_scalarIT4_EEPKT2_PKS1_PKS3_SB_lPS3_PiS9_iPS1_21rocsparse_index_base_20rocsparse_fill_mode_20rocsparse_diag_type_b
; %bb.0:
	s_clause 0x1
	s_load_dwordx4 s[8:11], s[4:5], 0x60
	s_load_dwordx2 s[0:1], s[4:5], 0x8
	s_waitcnt lgkmcnt(0)
	s_bitcmp1_b32 s11, 0
	v_mov_b32_e32 v3, s1
	v_mov_b32_e32 v2, s0
	s_cselect_b32 s2, -1, 0
	s_and_b32 vcc_lo, exec_lo, s2
	s_cbranch_vccnz .LBB4_2
; %bb.1:
	v_mov_b32_e32 v2, s1
	v_mov_b32_e32 v1, s0
	flat_load_dwordx2 v[2:3], v[1:2]
.LBB4_2:
	s_load_dword s1, s[4:5], 0x0
	v_readfirstlane_b32 s0, v0
	s_lshr_b32 s11, s0, 5
	s_lshl_b32 s0, s6, 5
	s_add_i32 s0, s11, s0
	s_waitcnt lgkmcnt(0)
	s_cmp_ge_i32 s0, s1
	s_cbranch_scc1 .LBB4_47
; %bb.3:
	s_clause 0x2
	s_load_dword s1, s[4:5], 0x50
	s_load_dwordx2 s[2:3], s[4:5], 0x48
	s_load_dwordx4 s[12:15], s[4:5], 0x38
	v_and_b32_e32 v9, 31, v0
	v_mov_b32_e32 v0, 0
	v_mov_b32_e32 v1, 0
	s_mov_b32 s6, exec_lo
	s_waitcnt lgkmcnt(0)
	s_add_i32 s0, s0, s1
	s_ashr_i32 s1, s0, 31
	s_lshl_b64 s[0:1], s[0:1], 2
	s_add_u32 s0, s2, s0
	s_addc_u32 s1, s3, s1
	s_load_dword s16, s[0:1], 0x0
	s_load_dwordx2 s[0:1], s[4:5], 0x10
	s_waitcnt lgkmcnt(0)
	s_ashr_i32 s17, s16, 31
	s_lshl_b64 s[2:3], s[16:17], 2
	s_add_u32 s0, s0, s2
	s_addc_u32 s1, s1, s3
	s_load_dwordx2 s[0:1], s[0:1], 0x0
	v_cmpx_eq_u32_e32 0, v9
	s_cbranch_execz .LBB4_5
; %bb.4:
	s_load_dwordx4 s[20:23], s[4:5], 0x28
	s_waitcnt lgkmcnt(0)
	s_mul_i32 s7, s22, s17
	s_mul_hi_u32 s18, s22, s16
	s_mul_i32 s19, s23, s16
	s_add_i32 s7, s18, s7
	s_mul_i32 s18, s22, s16
	s_add_i32 s19, s7, s19
	s_lshl_b64 s[18:19], s[18:19], 3
	s_add_u32 s18, s20, s18
	s_addc_u32 s19, s21, s19
	s_load_dwordx2 s[18:19], s[18:19], 0x0
	s_waitcnt vmcnt(0) lgkmcnt(0)
	v_mul_f64 v[0:1], v[2:3], s[18:19]
.LBB4_5:
	s_or_b32 exec_lo, exec_lo, s6
	s_waitcnt vmcnt(0)
	v_subrev_nc_u32_e32 v2, s8, v9
	s_waitcnt lgkmcnt(0)
	s_sub_i32 s21, s1, s8
	s_mov_b32 s20, exec_lo
	v_add_nc_u32_e32 v2, s0, v2
	v_cmpx_gt_i32_e64 s21, v2
	s_cbranch_execz .LBB4_43
; %bb.6:
	s_clause 0x1
	s_load_dwordx2 s[18:19], s[4:5], 0x58
	s_load_dwordx4 s[4:7], s[4:5], 0x18
	v_mov_b32_e32 v10, 0
	s_cmp_eq_u32 s10, 0
	s_mov_b32 s23, 0
	s_cselect_b32 s22, -1, 0
	s_add_i32 s24, s16, s8
	s_lshl_b32 s25, s11, 3
	s_branch .LBB4_8
.LBB4_7:                                ;   in Loop: Header=BB4_8 Depth=1
	s_or_b32 exec_lo, exec_lo, s26
	s_and_b32 s0, exec_lo, s0
	s_or_b32 s23, s0, s23
	s_andn2_b32 exec_lo, exec_lo, s23
	s_cbranch_execz .LBB4_42
.LBB4_8:                                ; =>This Loop Header: Depth=1
                                        ;     Child Loop BB4_32 Depth 2
	v_ashrrev_i32_e32 v3, 31, v2
	v_lshlrev_b64 v[4:5], 3, v[2:3]
	v_lshlrev_b64 v[6:7], 2, v[2:3]
	s_waitcnt lgkmcnt(0)
	v_add_co_u32 v4, vcc_lo, s6, v4
	v_add_co_ci_u32_e64 v5, null, s7, v5, vcc_lo
	global_load_dwordx2 v[3:4], v[4:5], off slc
	v_add_co_u32 v5, vcc_lo, s4, v6
	v_add_co_ci_u32_e64 v6, null, s5, v7, vcc_lo
	global_load_dword v5, v[5:6], off slc
	s_waitcnt vmcnt(1)
	v_cmp_eq_f64_e64 s1, 0, v[3:4]
	s_waitcnt vmcnt(0)
	v_subrev_nc_u32_e32 v5, s8, v5
	v_cmp_eq_u32_e32 vcc_lo, s16, v5
	v_cmp_ne_u32_e64 s0, s16, v5
	s_and_b32 s26, s22, vcc_lo
	s_and_b32 s1, s1, s26
	s_and_saveexec_b32 s26, s1
	s_cbranch_execz .LBB4_12
; %bb.9:                                ;   in Loop: Header=BB4_8 Depth=1
	v_mbcnt_lo_u32_b32 v3, exec_lo, 0
	s_mov_b32 s27, exec_lo
	v_cmpx_eq_u32_e32 0, v3
	s_cbranch_execz .LBB4_11
; %bb.10:                               ;   in Loop: Header=BB4_8 Depth=1
	v_mov_b32_e32 v3, s24
	global_atomic_smin v10, v3, s[18:19]
.LBB4_11:                               ;   in Loop: Header=BB4_8 Depth=1
	s_or_b32 exec_lo, exec_lo, s27
	v_mov_b32_e32 v3, 0
	v_mov_b32_e32 v4, 0x3ff00000
.LBB4_12:                               ;   in Loop: Header=BB4_8 Depth=1
	s_or_b32 exec_lo, exec_lo, s26
	s_mov_b32 s1, -1
	s_mov_b32 s26, 0
	s_cmp_lt_i32 s9, 1
	s_mov_b32 s27, 0
	s_cbranch_scc1 .LBB4_22
; %bb.13:                               ;   in Loop: Header=BB4_8 Depth=1
	s_cmp_eq_u32 s9, 1
	s_mov_b32 s27, -1
	s_cbranch_scc0 .LBB4_21
; %bb.14:                               ;   in Loop: Header=BB4_8 Depth=1
	s_mov_b32 s27, 0
	s_mov_b32 s28, exec_lo
	v_cmpx_le_i32_e64 s16, v5
	s_cbranch_execz .LBB4_20
; %bb.15:                               ;   in Loop: Header=BB4_8 Depth=1
	s_mov_b32 s27, -1
	s_and_saveexec_b32 s1, vcc_lo
	s_xor_b32 s1, exec_lo, s1
	s_cbranch_execz .LBB4_19
; %bb.16:                               ;   in Loop: Header=BB4_8 Depth=1
	s_andn2_b32 vcc_lo, exec_lo, s22
	s_cbranch_vccnz .LBB4_18
; %bb.17:                               ;   in Loop: Header=BB4_8 Depth=1
	v_div_scale_f64 v[6:7], null, v[3:4], v[3:4], 1.0
	v_mov_b32_e32 v8, s25
	v_rcp_f64_e32 v[11:12], v[6:7]
	v_fma_f64 v[13:14], -v[6:7], v[11:12], 1.0
	v_fma_f64 v[11:12], v[11:12], v[13:14], v[11:12]
	v_fma_f64 v[13:14], -v[6:7], v[11:12], 1.0
	v_fma_f64 v[11:12], v[11:12], v[13:14], v[11:12]
	v_div_scale_f64 v[13:14], vcc_lo, 1.0, v[3:4], 1.0
	v_mul_f64 v[15:16], v[13:14], v[11:12]
	v_fma_f64 v[6:7], -v[6:7], v[15:16], v[13:14]
	v_div_fmas_f64 v[6:7], v[6:7], v[11:12], v[15:16]
	v_div_fixup_f64 v[6:7], v[6:7], v[3:4], 1.0
	ds_write_b64 v8, v[6:7]
.LBB4_18:                               ;   in Loop: Header=BB4_8 Depth=1
	s_xor_b32 s27, exec_lo, -1
.LBB4_19:                               ;   in Loop: Header=BB4_8 Depth=1
	s_or_b32 exec_lo, exec_lo, s1
	s_and_b32 s27, s27, exec_lo
.LBB4_20:                               ;   in Loop: Header=BB4_8 Depth=1
	s_or_b32 exec_lo, exec_lo, s28
.LBB4_21:                               ;   in Loop: Header=BB4_8 Depth=1
	s_mov_b32 s1, 0
.LBB4_22:                               ;   in Loop: Header=BB4_8 Depth=1
	s_and_b32 vcc_lo, exec_lo, s1
	s_mov_b32 s1, 4
	s_cbranch_vccz .LBB4_29
; %bb.23:                               ;   in Loop: Header=BB4_8 Depth=1
	s_cmp_eq_u32 s9, 0
	s_cbranch_scc1 .LBB4_25
; %bb.24:                               ;   in Loop: Header=BB4_8 Depth=1
	s_mov_b32 s27, -1
	s_branch .LBB4_28
.LBB4_25:                               ;   in Loop: Header=BB4_8 Depth=1
	s_mov_b32 s27, 0
	s_mov_b32 s1, exec_lo
	v_cmpx_ge_i32_e64 s16, v5
; %bb.26:                               ;   in Loop: Header=BB4_8 Depth=1
	s_mov_b32 s26, exec_lo
	s_and_b32 s27, s0, exec_lo
; %bb.27:                               ;   in Loop: Header=BB4_8 Depth=1
	s_or_b32 exec_lo, exec_lo, s1
.LBB4_28:                               ;   in Loop: Header=BB4_8 Depth=1
	s_mov_b32 s1, 2
.LBB4_29:                               ;   in Loop: Header=BB4_8 Depth=1
	v_mov_b32_e32 v7, v1
	v_mov_b32_e32 v8, s1
	;; [unrolled: 1-line block ×3, first 2 shown]
	s_and_saveexec_b32 s0, s27
	s_cbranch_execz .LBB4_34
; %bb.30:                               ;   in Loop: Header=BB4_8 Depth=1
	v_ashrrev_i32_e32 v6, 31, v5
	s_mov_b32 s1, exec_lo
	v_lshlrev_b64 v[7:8], 2, v[5:6]
	v_add_co_u32 v7, vcc_lo, s14, v7
	v_add_co_ci_u32_e64 v8, null, s15, v8, vcc_lo
	global_load_dword v11, v[7:8], off glc dlc
	s_waitcnt vmcnt(0)
	v_cmpx_eq_u32_e32 0, v11
	s_cbranch_execz .LBB4_33
; %bb.31:                               ;   in Loop: Header=BB4_8 Depth=1
	s_mov_b32 s27, 0
.LBB4_32:                               ;   Parent Loop BB4_8 Depth=1
                                        ; =>  This Inner Loop Header: Depth=2
	global_load_dword v11, v[7:8], off glc dlc
	s_waitcnt vmcnt(0)
	v_cmp_ne_u32_e32 vcc_lo, 0, v11
	s_or_b32 s27, vcc_lo, s27
	s_andn2_b32 exec_lo, exec_lo, s27
	s_cbranch_execnz .LBB4_32
.LBB4_33:                               ;   in Loop: Header=BB4_8 Depth=1
	s_or_b32 exec_lo, exec_lo, s1
	v_lshlrev_b64 v[5:6], 3, v[5:6]
	s_waitcnt lgkmcnt(0)
	s_waitcnt_vscnt null, 0x0
	buffer_gl1_inv
	buffer_gl0_inv
	v_mov_b32_e32 v8, 0
	s_andn2_b32 s26, s26, exec_lo
	v_add_co_u32 v5, vcc_lo, s12, v5
	v_add_co_ci_u32_e64 v6, null, s13, v6, vcc_lo
	global_load_dwordx2 v[5:6], v[5:6], off
	s_waitcnt vmcnt(0)
	v_fma_f64 v[6:7], -v[3:4], v[5:6], v[0:1]
.LBB4_34:                               ;   in Loop: Header=BB4_8 Depth=1
	s_or_b32 exec_lo, exec_lo, s0
	s_and_saveexec_b32 s0, s26
	s_cbranch_execz .LBB4_38
; %bb.35:                               ;   in Loop: Header=BB4_8 Depth=1
	s_andn2_b32 vcc_lo, exec_lo, s22
	s_cbranch_vccnz .LBB4_37
; %bb.36:                               ;   in Loop: Header=BB4_8 Depth=1
	v_div_scale_f64 v[5:6], null, v[3:4], v[3:4], 1.0
	v_rcp_f64_e32 v[7:8], v[5:6]
	v_fma_f64 v[11:12], -v[5:6], v[7:8], 1.0
	v_fma_f64 v[7:8], v[7:8], v[11:12], v[7:8]
	v_fma_f64 v[11:12], -v[5:6], v[7:8], 1.0
	v_fma_f64 v[7:8], v[7:8], v[11:12], v[7:8]
	v_div_scale_f64 v[11:12], vcc_lo, 1.0, v[3:4], 1.0
	v_mul_f64 v[13:14], v[11:12], v[7:8]
	v_fma_f64 v[5:6], -v[5:6], v[13:14], v[11:12]
	v_div_fmas_f64 v[5:6], v[5:6], v[7:8], v[13:14]
	v_div_fixup_f64 v[3:4], v[5:6], v[3:4], 1.0
	v_mov_b32_e32 v5, s25
	ds_write_b64 v5, v[3:4]
.LBB4_37:                               ;   in Loop: Header=BB4_8 Depth=1
	v_mov_b32_e32 v7, v1
	v_mov_b32_e32 v8, 2
	v_mov_b32_e32 v6, v0
.LBB4_38:                               ;   in Loop: Header=BB4_8 Depth=1
	s_or_b32 exec_lo, exec_lo, s0
	v_mov_b32_e32 v0, v6
	v_mov_b32_e32 v1, v7
	s_mov_b32 s0, -1
	s_mov_b32 s1, -1
	s_mov_b32 s26, exec_lo
	v_cmpx_gt_i32_e32 4, v8
; %bb.39:                               ;   in Loop: Header=BB4_8 Depth=1
	v_cmp_eq_u32_e32 vcc_lo, 0, v8
	s_orn2_b32 s1, vcc_lo, exec_lo
; %bb.40:                               ;   in Loop: Header=BB4_8 Depth=1
	s_or_b32 exec_lo, exec_lo, s26
	s_and_saveexec_b32 s26, s1
	s_cbranch_execz .LBB4_7
; %bb.41:                               ;   in Loop: Header=BB4_8 Depth=1
	v_add_nc_u32_e32 v2, 32, v2
	v_cmp_le_i32_e32 vcc_lo, s21, v2
	s_orn2_b32 s0, vcc_lo, exec_lo
	s_branch .LBB4_7
.LBB4_42:
	s_or_b32 exec_lo, exec_lo, s23
.LBB4_43:
	s_or_b32 exec_lo, exec_lo, s20
	v_mbcnt_lo_u32_b32 v4, -1, 0
	s_cmp_lg_u32 s10, 0
	v_xor_b32_e32 v2, 16, v4
	v_cmp_gt_i32_e32 vcc_lo, 32, v2
	v_cndmask_b32_e32 v2, v4, v2, vcc_lo
	v_lshlrev_b32_e32 v3, 2, v2
	ds_bpermute_b32 v2, v3, v0
	ds_bpermute_b32 v3, v3, v1
	s_waitcnt lgkmcnt(0)
	v_add_f64 v[0:1], v[0:1], v[2:3]
	v_xor_b32_e32 v2, 8, v4
	v_cmp_gt_i32_e32 vcc_lo, 32, v2
	v_cndmask_b32_e32 v2, v4, v2, vcc_lo
	v_lshlrev_b32_e32 v3, 2, v2
	ds_bpermute_b32 v2, v3, v0
	ds_bpermute_b32 v3, v3, v1
	s_waitcnt lgkmcnt(0)
	v_add_f64 v[0:1], v[0:1], v[2:3]
	;; [unrolled: 8-line block ×5, first 2 shown]
	s_cbranch_scc1 .LBB4_45
; %bb.44:
	s_lshl_b32 s0, s11, 3
	s_waitcnt_vscnt null, 0x0
	buffer_gl0_inv
	v_mov_b32_e32 v2, s0
	ds_read_b64 v[2:3], v2
	s_waitcnt lgkmcnt(0)
	v_mul_f64 v[0:1], v[0:1], v[2:3]
.LBB4_45:
	s_mov_b32 s0, exec_lo
	v_cmpx_eq_u32_e32 31, v9
	s_cbranch_execz .LBB4_47
; %bb.46:
	s_lshl_b64 s[0:1], s[16:17], 3
	v_mov_b32_e32 v2, 0
	s_add_u32 s0, s12, s0
	v_mov_b32_e32 v3, 1
	s_addc_u32 s1, s13, s1
	s_add_u32 s2, s14, s2
	s_addc_u32 s3, s15, s3
	global_store_dwordx2 v2, v[0:1], s[0:1] glc slc
	s_waitcnt_vscnt null, 0x0
	global_store_dword v2, v3, s[2:3]
.LBB4_47:
	s_endpgm
	.section	.rodata,"a",@progbits
	.p2align	6, 0x0
	.amdhsa_kernel _ZN9rocsparseL12csrsv_kernelILj1024ELj32ELb0EiidEEvT3_NS_24const_host_device_scalarIT4_EEPKT2_PKS1_PKS3_SB_lPS3_PiS9_iPS1_21rocsparse_index_base_20rocsparse_fill_mode_20rocsparse_diag_type_b
		.amdhsa_group_segment_fixed_size 256
		.amdhsa_private_segment_fixed_size 0
		.amdhsa_kernarg_size 112
		.amdhsa_user_sgpr_count 6
		.amdhsa_user_sgpr_private_segment_buffer 1
		.amdhsa_user_sgpr_dispatch_ptr 0
		.amdhsa_user_sgpr_queue_ptr 0
		.amdhsa_user_sgpr_kernarg_segment_ptr 1
		.amdhsa_user_sgpr_dispatch_id 0
		.amdhsa_user_sgpr_flat_scratch_init 0
		.amdhsa_user_sgpr_private_segment_size 0
		.amdhsa_wavefront_size32 1
		.amdhsa_uses_dynamic_stack 0
		.amdhsa_system_sgpr_private_segment_wavefront_offset 0
		.amdhsa_system_sgpr_workgroup_id_x 1
		.amdhsa_system_sgpr_workgroup_id_y 0
		.amdhsa_system_sgpr_workgroup_id_z 0
		.amdhsa_system_sgpr_workgroup_info 0
		.amdhsa_system_vgpr_workitem_id 0
		.amdhsa_next_free_vgpr 17
		.amdhsa_next_free_sgpr 29
		.amdhsa_reserve_vcc 1
		.amdhsa_reserve_flat_scratch 0
		.amdhsa_float_round_mode_32 0
		.amdhsa_float_round_mode_16_64 0
		.amdhsa_float_denorm_mode_32 3
		.amdhsa_float_denorm_mode_16_64 3
		.amdhsa_dx10_clamp 1
		.amdhsa_ieee_mode 1
		.amdhsa_fp16_overflow 0
		.amdhsa_workgroup_processor_mode 1
		.amdhsa_memory_ordered 1
		.amdhsa_forward_progress 1
		.amdhsa_shared_vgpr_count 0
		.amdhsa_exception_fp_ieee_invalid_op 0
		.amdhsa_exception_fp_denorm_src 0
		.amdhsa_exception_fp_ieee_div_zero 0
		.amdhsa_exception_fp_ieee_overflow 0
		.amdhsa_exception_fp_ieee_underflow 0
		.amdhsa_exception_fp_ieee_inexact 0
		.amdhsa_exception_int_div_zero 0
	.end_amdhsa_kernel
	.section	.text._ZN9rocsparseL12csrsv_kernelILj1024ELj32ELb0EiidEEvT3_NS_24const_host_device_scalarIT4_EEPKT2_PKS1_PKS3_SB_lPS3_PiS9_iPS1_21rocsparse_index_base_20rocsparse_fill_mode_20rocsparse_diag_type_b,"axG",@progbits,_ZN9rocsparseL12csrsv_kernelILj1024ELj32ELb0EiidEEvT3_NS_24const_host_device_scalarIT4_EEPKT2_PKS1_PKS3_SB_lPS3_PiS9_iPS1_21rocsparse_index_base_20rocsparse_fill_mode_20rocsparse_diag_type_b,comdat
.Lfunc_end4:
	.size	_ZN9rocsparseL12csrsv_kernelILj1024ELj32ELb0EiidEEvT3_NS_24const_host_device_scalarIT4_EEPKT2_PKS1_PKS3_SB_lPS3_PiS9_iPS1_21rocsparse_index_base_20rocsparse_fill_mode_20rocsparse_diag_type_b, .Lfunc_end4-_ZN9rocsparseL12csrsv_kernelILj1024ELj32ELb0EiidEEvT3_NS_24const_host_device_scalarIT4_EEPKT2_PKS1_PKS3_SB_lPS3_PiS9_iPS1_21rocsparse_index_base_20rocsparse_fill_mode_20rocsparse_diag_type_b
                                        ; -- End function
	.set _ZN9rocsparseL12csrsv_kernelILj1024ELj32ELb0EiidEEvT3_NS_24const_host_device_scalarIT4_EEPKT2_PKS1_PKS3_SB_lPS3_PiS9_iPS1_21rocsparse_index_base_20rocsparse_fill_mode_20rocsparse_diag_type_b.num_vgpr, 17
	.set _ZN9rocsparseL12csrsv_kernelILj1024ELj32ELb0EiidEEvT3_NS_24const_host_device_scalarIT4_EEPKT2_PKS1_PKS3_SB_lPS3_PiS9_iPS1_21rocsparse_index_base_20rocsparse_fill_mode_20rocsparse_diag_type_b.num_agpr, 0
	.set _ZN9rocsparseL12csrsv_kernelILj1024ELj32ELb0EiidEEvT3_NS_24const_host_device_scalarIT4_EEPKT2_PKS1_PKS3_SB_lPS3_PiS9_iPS1_21rocsparse_index_base_20rocsparse_fill_mode_20rocsparse_diag_type_b.numbered_sgpr, 29
	.set _ZN9rocsparseL12csrsv_kernelILj1024ELj32ELb0EiidEEvT3_NS_24const_host_device_scalarIT4_EEPKT2_PKS1_PKS3_SB_lPS3_PiS9_iPS1_21rocsparse_index_base_20rocsparse_fill_mode_20rocsparse_diag_type_b.num_named_barrier, 0
	.set _ZN9rocsparseL12csrsv_kernelILj1024ELj32ELb0EiidEEvT3_NS_24const_host_device_scalarIT4_EEPKT2_PKS1_PKS3_SB_lPS3_PiS9_iPS1_21rocsparse_index_base_20rocsparse_fill_mode_20rocsparse_diag_type_b.private_seg_size, 0
	.set _ZN9rocsparseL12csrsv_kernelILj1024ELj32ELb0EiidEEvT3_NS_24const_host_device_scalarIT4_EEPKT2_PKS1_PKS3_SB_lPS3_PiS9_iPS1_21rocsparse_index_base_20rocsparse_fill_mode_20rocsparse_diag_type_b.uses_vcc, 1
	.set _ZN9rocsparseL12csrsv_kernelILj1024ELj32ELb0EiidEEvT3_NS_24const_host_device_scalarIT4_EEPKT2_PKS1_PKS3_SB_lPS3_PiS9_iPS1_21rocsparse_index_base_20rocsparse_fill_mode_20rocsparse_diag_type_b.uses_flat_scratch, 0
	.set _ZN9rocsparseL12csrsv_kernelILj1024ELj32ELb0EiidEEvT3_NS_24const_host_device_scalarIT4_EEPKT2_PKS1_PKS3_SB_lPS3_PiS9_iPS1_21rocsparse_index_base_20rocsparse_fill_mode_20rocsparse_diag_type_b.has_dyn_sized_stack, 0
	.set _ZN9rocsparseL12csrsv_kernelILj1024ELj32ELb0EiidEEvT3_NS_24const_host_device_scalarIT4_EEPKT2_PKS1_PKS3_SB_lPS3_PiS9_iPS1_21rocsparse_index_base_20rocsparse_fill_mode_20rocsparse_diag_type_b.has_recursion, 0
	.set _ZN9rocsparseL12csrsv_kernelILj1024ELj32ELb0EiidEEvT3_NS_24const_host_device_scalarIT4_EEPKT2_PKS1_PKS3_SB_lPS3_PiS9_iPS1_21rocsparse_index_base_20rocsparse_fill_mode_20rocsparse_diag_type_b.has_indirect_call, 0
	.section	.AMDGPU.csdata,"",@progbits
; Kernel info:
; codeLenInByte = 1544
; TotalNumSgprs: 31
; NumVgprs: 17
; ScratchSize: 0
; MemoryBound: 0
; FloatMode: 240
; IeeeMode: 1
; LDSByteSize: 256 bytes/workgroup (compile time only)
; SGPRBlocks: 0
; VGPRBlocks: 2
; NumSGPRsForWavesPerEU: 31
; NumVGPRsForWavesPerEU: 17
; Occupancy: 16
; WaveLimiterHint : 1
; COMPUTE_PGM_RSRC2:SCRATCH_EN: 0
; COMPUTE_PGM_RSRC2:USER_SGPR: 6
; COMPUTE_PGM_RSRC2:TRAP_HANDLER: 0
; COMPUTE_PGM_RSRC2:TGID_X_EN: 1
; COMPUTE_PGM_RSRC2:TGID_Y_EN: 0
; COMPUTE_PGM_RSRC2:TGID_Z_EN: 0
; COMPUTE_PGM_RSRC2:TIDIG_COMP_CNT: 0
	.section	.text._ZN9rocsparseL12csrsv_kernelILj1024ELj64ELb0EiidEEvT3_NS_24const_host_device_scalarIT4_EEPKT2_PKS1_PKS3_SB_lPS3_PiS9_iPS1_21rocsparse_index_base_20rocsparse_fill_mode_20rocsparse_diag_type_b,"axG",@progbits,_ZN9rocsparseL12csrsv_kernelILj1024ELj64ELb0EiidEEvT3_NS_24const_host_device_scalarIT4_EEPKT2_PKS1_PKS3_SB_lPS3_PiS9_iPS1_21rocsparse_index_base_20rocsparse_fill_mode_20rocsparse_diag_type_b,comdat
	.globl	_ZN9rocsparseL12csrsv_kernelILj1024ELj64ELb0EiidEEvT3_NS_24const_host_device_scalarIT4_EEPKT2_PKS1_PKS3_SB_lPS3_PiS9_iPS1_21rocsparse_index_base_20rocsparse_fill_mode_20rocsparse_diag_type_b ; -- Begin function _ZN9rocsparseL12csrsv_kernelILj1024ELj64ELb0EiidEEvT3_NS_24const_host_device_scalarIT4_EEPKT2_PKS1_PKS3_SB_lPS3_PiS9_iPS1_21rocsparse_index_base_20rocsparse_fill_mode_20rocsparse_diag_type_b
	.p2align	8
	.type	_ZN9rocsparseL12csrsv_kernelILj1024ELj64ELb0EiidEEvT3_NS_24const_host_device_scalarIT4_EEPKT2_PKS1_PKS3_SB_lPS3_PiS9_iPS1_21rocsparse_index_base_20rocsparse_fill_mode_20rocsparse_diag_type_b,@function
_ZN9rocsparseL12csrsv_kernelILj1024ELj64ELb0EiidEEvT3_NS_24const_host_device_scalarIT4_EEPKT2_PKS1_PKS3_SB_lPS3_PiS9_iPS1_21rocsparse_index_base_20rocsparse_fill_mode_20rocsparse_diag_type_b: ; @_ZN9rocsparseL12csrsv_kernelILj1024ELj64ELb0EiidEEvT3_NS_24const_host_device_scalarIT4_EEPKT2_PKS1_PKS3_SB_lPS3_PiS9_iPS1_21rocsparse_index_base_20rocsparse_fill_mode_20rocsparse_diag_type_b
; %bb.0:
	s_clause 0x1
	s_load_dwordx4 s[8:11], s[4:5], 0x60
	s_load_dwordx2 s[0:1], s[4:5], 0x8
	s_waitcnt lgkmcnt(0)
	s_bitcmp1_b32 s11, 0
	v_mov_b32_e32 v3, s1
	v_mov_b32_e32 v2, s0
	s_cselect_b32 s2, -1, 0
	s_and_b32 vcc_lo, exec_lo, s2
	s_cbranch_vccnz .LBB5_2
; %bb.1:
	v_mov_b32_e32 v2, s1
	v_mov_b32_e32 v1, s0
	flat_load_dwordx2 v[2:3], v[1:2]
.LBB5_2:
	s_load_dword s1, s[4:5], 0x0
	v_readfirstlane_b32 s0, v0
	s_lshr_b32 s11, s0, 6
	s_lshl_b32 s0, s6, 4
	s_add_i32 s0, s11, s0
	s_waitcnt lgkmcnt(0)
	s_cmp_ge_i32 s0, s1
	s_cbranch_scc1 .LBB5_47
; %bb.3:
	s_clause 0x2
	s_load_dword s1, s[4:5], 0x50
	s_load_dwordx2 s[2:3], s[4:5], 0x48
	s_load_dwordx4 s[12:15], s[4:5], 0x38
	v_and_b32_e32 v9, 63, v0
	v_mov_b32_e32 v0, 0
	v_mov_b32_e32 v1, 0
	s_mov_b32 s6, exec_lo
	s_waitcnt lgkmcnt(0)
	s_add_i32 s0, s0, s1
	s_ashr_i32 s1, s0, 31
	s_lshl_b64 s[0:1], s[0:1], 2
	s_add_u32 s0, s2, s0
	s_addc_u32 s1, s3, s1
	s_load_dword s16, s[0:1], 0x0
	s_load_dwordx2 s[0:1], s[4:5], 0x10
	s_waitcnt lgkmcnt(0)
	s_ashr_i32 s17, s16, 31
	s_lshl_b64 s[2:3], s[16:17], 2
	s_add_u32 s0, s0, s2
	s_addc_u32 s1, s1, s3
	s_load_dwordx2 s[0:1], s[0:1], 0x0
	v_cmpx_eq_u32_e32 0, v9
	s_cbranch_execz .LBB5_5
; %bb.4:
	s_load_dwordx4 s[20:23], s[4:5], 0x28
	s_waitcnt lgkmcnt(0)
	s_mul_i32 s7, s22, s17
	s_mul_hi_u32 s18, s22, s16
	s_mul_i32 s19, s23, s16
	s_add_i32 s7, s18, s7
	s_mul_i32 s18, s22, s16
	s_add_i32 s19, s7, s19
	s_lshl_b64 s[18:19], s[18:19], 3
	s_add_u32 s18, s20, s18
	s_addc_u32 s19, s21, s19
	s_load_dwordx2 s[18:19], s[18:19], 0x0
	s_waitcnt vmcnt(0) lgkmcnt(0)
	v_mul_f64 v[0:1], v[2:3], s[18:19]
.LBB5_5:
	s_or_b32 exec_lo, exec_lo, s6
	s_waitcnt vmcnt(0)
	v_subrev_nc_u32_e32 v2, s8, v9
	s_waitcnt lgkmcnt(0)
	s_sub_i32 s21, s1, s8
	s_mov_b32 s20, exec_lo
	v_add_nc_u32_e32 v2, s0, v2
	v_cmpx_gt_i32_e64 s21, v2
	s_cbranch_execz .LBB5_43
; %bb.6:
	s_clause 0x1
	s_load_dwordx2 s[18:19], s[4:5], 0x58
	s_load_dwordx4 s[4:7], s[4:5], 0x18
	v_mov_b32_e32 v10, 0
	s_cmp_eq_u32 s10, 0
	s_mov_b32 s23, 0
	s_cselect_b32 s22, -1, 0
	s_add_i32 s24, s16, s8
	s_lshl_b32 s25, s11, 3
	s_branch .LBB5_8
.LBB5_7:                                ;   in Loop: Header=BB5_8 Depth=1
	s_or_b32 exec_lo, exec_lo, s26
	s_and_b32 s0, exec_lo, s0
	s_or_b32 s23, s0, s23
	s_andn2_b32 exec_lo, exec_lo, s23
	s_cbranch_execz .LBB5_42
.LBB5_8:                                ; =>This Loop Header: Depth=1
                                        ;     Child Loop BB5_32 Depth 2
	v_ashrrev_i32_e32 v3, 31, v2
	v_lshlrev_b64 v[4:5], 3, v[2:3]
	v_lshlrev_b64 v[6:7], 2, v[2:3]
	s_waitcnt lgkmcnt(0)
	v_add_co_u32 v4, vcc_lo, s6, v4
	v_add_co_ci_u32_e64 v5, null, s7, v5, vcc_lo
	global_load_dwordx2 v[3:4], v[4:5], off slc
	v_add_co_u32 v5, vcc_lo, s4, v6
	v_add_co_ci_u32_e64 v6, null, s5, v7, vcc_lo
	global_load_dword v5, v[5:6], off slc
	s_waitcnt vmcnt(1)
	v_cmp_eq_f64_e64 s1, 0, v[3:4]
	s_waitcnt vmcnt(0)
	v_subrev_nc_u32_e32 v5, s8, v5
	v_cmp_eq_u32_e32 vcc_lo, s16, v5
	v_cmp_ne_u32_e64 s0, s16, v5
	s_and_b32 s26, s22, vcc_lo
	s_and_b32 s1, s1, s26
	s_and_saveexec_b32 s26, s1
	s_cbranch_execz .LBB5_12
; %bb.9:                                ;   in Loop: Header=BB5_8 Depth=1
	v_mbcnt_lo_u32_b32 v3, exec_lo, 0
	s_mov_b32 s27, exec_lo
	v_cmpx_eq_u32_e32 0, v3
	s_cbranch_execz .LBB5_11
; %bb.10:                               ;   in Loop: Header=BB5_8 Depth=1
	v_mov_b32_e32 v3, s24
	global_atomic_smin v10, v3, s[18:19]
.LBB5_11:                               ;   in Loop: Header=BB5_8 Depth=1
	s_or_b32 exec_lo, exec_lo, s27
	v_mov_b32_e32 v3, 0
	v_mov_b32_e32 v4, 0x3ff00000
.LBB5_12:                               ;   in Loop: Header=BB5_8 Depth=1
	s_or_b32 exec_lo, exec_lo, s26
	s_mov_b32 s1, -1
	s_mov_b32 s26, 0
	s_cmp_lt_i32 s9, 1
	s_mov_b32 s27, 0
	s_cbranch_scc1 .LBB5_22
; %bb.13:                               ;   in Loop: Header=BB5_8 Depth=1
	s_cmp_eq_u32 s9, 1
	s_mov_b32 s27, -1
	s_cbranch_scc0 .LBB5_21
; %bb.14:                               ;   in Loop: Header=BB5_8 Depth=1
	s_mov_b32 s27, 0
	s_mov_b32 s28, exec_lo
	v_cmpx_le_i32_e64 s16, v5
	s_cbranch_execz .LBB5_20
; %bb.15:                               ;   in Loop: Header=BB5_8 Depth=1
	s_mov_b32 s27, -1
	s_and_saveexec_b32 s1, vcc_lo
	s_xor_b32 s1, exec_lo, s1
	s_cbranch_execz .LBB5_19
; %bb.16:                               ;   in Loop: Header=BB5_8 Depth=1
	s_andn2_b32 vcc_lo, exec_lo, s22
	s_cbranch_vccnz .LBB5_18
; %bb.17:                               ;   in Loop: Header=BB5_8 Depth=1
	v_div_scale_f64 v[6:7], null, v[3:4], v[3:4], 1.0
	v_mov_b32_e32 v8, s25
	v_rcp_f64_e32 v[11:12], v[6:7]
	v_fma_f64 v[13:14], -v[6:7], v[11:12], 1.0
	v_fma_f64 v[11:12], v[11:12], v[13:14], v[11:12]
	v_fma_f64 v[13:14], -v[6:7], v[11:12], 1.0
	v_fma_f64 v[11:12], v[11:12], v[13:14], v[11:12]
	v_div_scale_f64 v[13:14], vcc_lo, 1.0, v[3:4], 1.0
	v_mul_f64 v[15:16], v[13:14], v[11:12]
	v_fma_f64 v[6:7], -v[6:7], v[15:16], v[13:14]
	v_div_fmas_f64 v[6:7], v[6:7], v[11:12], v[15:16]
	v_div_fixup_f64 v[6:7], v[6:7], v[3:4], 1.0
	ds_write_b64 v8, v[6:7]
.LBB5_18:                               ;   in Loop: Header=BB5_8 Depth=1
	s_xor_b32 s27, exec_lo, -1
.LBB5_19:                               ;   in Loop: Header=BB5_8 Depth=1
	s_or_b32 exec_lo, exec_lo, s1
	s_and_b32 s27, s27, exec_lo
.LBB5_20:                               ;   in Loop: Header=BB5_8 Depth=1
	s_or_b32 exec_lo, exec_lo, s28
.LBB5_21:                               ;   in Loop: Header=BB5_8 Depth=1
	s_mov_b32 s1, 0
.LBB5_22:                               ;   in Loop: Header=BB5_8 Depth=1
	s_and_b32 vcc_lo, exec_lo, s1
	s_mov_b32 s1, 4
	s_cbranch_vccz .LBB5_29
; %bb.23:                               ;   in Loop: Header=BB5_8 Depth=1
	s_cmp_eq_u32 s9, 0
	s_cbranch_scc1 .LBB5_25
; %bb.24:                               ;   in Loop: Header=BB5_8 Depth=1
	s_mov_b32 s27, -1
	s_branch .LBB5_28
.LBB5_25:                               ;   in Loop: Header=BB5_8 Depth=1
	s_mov_b32 s27, 0
	s_mov_b32 s1, exec_lo
	v_cmpx_ge_i32_e64 s16, v5
; %bb.26:                               ;   in Loop: Header=BB5_8 Depth=1
	s_mov_b32 s26, exec_lo
	s_and_b32 s27, s0, exec_lo
; %bb.27:                               ;   in Loop: Header=BB5_8 Depth=1
	s_or_b32 exec_lo, exec_lo, s1
.LBB5_28:                               ;   in Loop: Header=BB5_8 Depth=1
	s_mov_b32 s1, 2
.LBB5_29:                               ;   in Loop: Header=BB5_8 Depth=1
	v_mov_b32_e32 v7, v1
	v_mov_b32_e32 v8, s1
	;; [unrolled: 1-line block ×3, first 2 shown]
	s_and_saveexec_b32 s0, s27
	s_cbranch_execz .LBB5_34
; %bb.30:                               ;   in Loop: Header=BB5_8 Depth=1
	v_ashrrev_i32_e32 v6, 31, v5
	s_mov_b32 s1, exec_lo
	v_lshlrev_b64 v[7:8], 2, v[5:6]
	v_add_co_u32 v7, vcc_lo, s14, v7
	v_add_co_ci_u32_e64 v8, null, s15, v8, vcc_lo
	global_load_dword v11, v[7:8], off glc dlc
	s_waitcnt vmcnt(0)
	v_cmpx_eq_u32_e32 0, v11
	s_cbranch_execz .LBB5_33
; %bb.31:                               ;   in Loop: Header=BB5_8 Depth=1
	s_mov_b32 s27, 0
.LBB5_32:                               ;   Parent Loop BB5_8 Depth=1
                                        ; =>  This Inner Loop Header: Depth=2
	global_load_dword v11, v[7:8], off glc dlc
	s_waitcnt vmcnt(0)
	v_cmp_ne_u32_e32 vcc_lo, 0, v11
	s_or_b32 s27, vcc_lo, s27
	s_andn2_b32 exec_lo, exec_lo, s27
	s_cbranch_execnz .LBB5_32
.LBB5_33:                               ;   in Loop: Header=BB5_8 Depth=1
	s_or_b32 exec_lo, exec_lo, s1
	v_lshlrev_b64 v[5:6], 3, v[5:6]
	s_waitcnt lgkmcnt(0)
	s_waitcnt_vscnt null, 0x0
	buffer_gl1_inv
	buffer_gl0_inv
	v_mov_b32_e32 v8, 0
	s_andn2_b32 s26, s26, exec_lo
	v_add_co_u32 v5, vcc_lo, s12, v5
	v_add_co_ci_u32_e64 v6, null, s13, v6, vcc_lo
	global_load_dwordx2 v[5:6], v[5:6], off
	s_waitcnt vmcnt(0)
	v_fma_f64 v[6:7], -v[3:4], v[5:6], v[0:1]
.LBB5_34:                               ;   in Loop: Header=BB5_8 Depth=1
	s_or_b32 exec_lo, exec_lo, s0
	s_and_saveexec_b32 s0, s26
	s_cbranch_execz .LBB5_38
; %bb.35:                               ;   in Loop: Header=BB5_8 Depth=1
	s_andn2_b32 vcc_lo, exec_lo, s22
	s_cbranch_vccnz .LBB5_37
; %bb.36:                               ;   in Loop: Header=BB5_8 Depth=1
	v_div_scale_f64 v[5:6], null, v[3:4], v[3:4], 1.0
	v_rcp_f64_e32 v[7:8], v[5:6]
	v_fma_f64 v[11:12], -v[5:6], v[7:8], 1.0
	v_fma_f64 v[7:8], v[7:8], v[11:12], v[7:8]
	v_fma_f64 v[11:12], -v[5:6], v[7:8], 1.0
	v_fma_f64 v[7:8], v[7:8], v[11:12], v[7:8]
	v_div_scale_f64 v[11:12], vcc_lo, 1.0, v[3:4], 1.0
	v_mul_f64 v[13:14], v[11:12], v[7:8]
	v_fma_f64 v[5:6], -v[5:6], v[13:14], v[11:12]
	v_div_fmas_f64 v[5:6], v[5:6], v[7:8], v[13:14]
	v_div_fixup_f64 v[3:4], v[5:6], v[3:4], 1.0
	v_mov_b32_e32 v5, s25
	ds_write_b64 v5, v[3:4]
.LBB5_37:                               ;   in Loop: Header=BB5_8 Depth=1
	v_mov_b32_e32 v7, v1
	v_mov_b32_e32 v8, 2
	;; [unrolled: 1-line block ×3, first 2 shown]
.LBB5_38:                               ;   in Loop: Header=BB5_8 Depth=1
	s_or_b32 exec_lo, exec_lo, s0
	v_mov_b32_e32 v0, v6
	v_mov_b32_e32 v1, v7
	s_mov_b32 s0, -1
	s_mov_b32 s1, -1
	s_mov_b32 s26, exec_lo
	v_cmpx_gt_i32_e32 4, v8
; %bb.39:                               ;   in Loop: Header=BB5_8 Depth=1
	v_cmp_eq_u32_e32 vcc_lo, 0, v8
	s_orn2_b32 s1, vcc_lo, exec_lo
; %bb.40:                               ;   in Loop: Header=BB5_8 Depth=1
	s_or_b32 exec_lo, exec_lo, s26
	s_and_saveexec_b32 s26, s1
	s_cbranch_execz .LBB5_7
; %bb.41:                               ;   in Loop: Header=BB5_8 Depth=1
	v_add_nc_u32_e32 v2, 64, v2
	v_cmp_le_i32_e32 vcc_lo, s21, v2
	s_orn2_b32 s0, vcc_lo, exec_lo
	s_branch .LBB5_7
.LBB5_42:
	s_or_b32 exec_lo, exec_lo, s23
.LBB5_43:
	s_or_b32 exec_lo, exec_lo, s20
	v_mbcnt_lo_u32_b32 v4, -1, 0
	s_cmp_lg_u32 s10, 0
	v_or_b32_e32 v2, 32, v4
	v_cmp_gt_i32_e32 vcc_lo, 32, v2
	v_cndmask_b32_e32 v2, v4, v2, vcc_lo
	v_lshlrev_b32_e32 v3, 2, v2
	ds_bpermute_b32 v2, v3, v0
	ds_bpermute_b32 v3, v3, v1
	s_waitcnt lgkmcnt(0)
	v_add_f64 v[0:1], v[0:1], v[2:3]
	v_xor_b32_e32 v2, 16, v4
	v_cmp_gt_i32_e32 vcc_lo, 32, v2
	v_cndmask_b32_e32 v2, v4, v2, vcc_lo
	v_lshlrev_b32_e32 v3, 2, v2
	ds_bpermute_b32 v2, v3, v0
	ds_bpermute_b32 v3, v3, v1
	s_waitcnt lgkmcnt(0)
	v_add_f64 v[0:1], v[0:1], v[2:3]
	v_xor_b32_e32 v2, 8, v4
	;; [unrolled: 8-line block ×5, first 2 shown]
	v_cmp_gt_i32_e32 vcc_lo, 32, v2
	v_cndmask_b32_e32 v2, v4, v2, vcc_lo
	v_lshlrev_b32_e32 v3, 2, v2
	ds_bpermute_b32 v2, v3, v0
	ds_bpermute_b32 v3, v3, v1
	s_waitcnt lgkmcnt(0)
	v_add_f64 v[0:1], v[0:1], v[2:3]
	s_cbranch_scc1 .LBB5_45
; %bb.44:
	s_lshl_b32 s0, s11, 3
	s_waitcnt_vscnt null, 0x0
	buffer_gl0_inv
	v_mov_b32_e32 v2, s0
	ds_read_b64 v[2:3], v2
	s_waitcnt lgkmcnt(0)
	v_mul_f64 v[0:1], v[0:1], v[2:3]
.LBB5_45:
	s_mov_b32 s0, exec_lo
	v_cmpx_eq_u32_e32 63, v9
	s_cbranch_execz .LBB5_47
; %bb.46:
	s_lshl_b64 s[0:1], s[16:17], 3
	v_mov_b32_e32 v2, 0
	s_add_u32 s0, s12, s0
	v_mov_b32_e32 v3, 1
	s_addc_u32 s1, s13, s1
	s_add_u32 s2, s14, s2
	s_addc_u32 s3, s15, s3
	global_store_dwordx2 v2, v[0:1], s[0:1] glc slc
	s_waitcnt_vscnt null, 0x0
	global_store_dword v2, v3, s[2:3]
.LBB5_47:
	s_endpgm
	.section	.rodata,"a",@progbits
	.p2align	6, 0x0
	.amdhsa_kernel _ZN9rocsparseL12csrsv_kernelILj1024ELj64ELb0EiidEEvT3_NS_24const_host_device_scalarIT4_EEPKT2_PKS1_PKS3_SB_lPS3_PiS9_iPS1_21rocsparse_index_base_20rocsparse_fill_mode_20rocsparse_diag_type_b
		.amdhsa_group_segment_fixed_size 128
		.amdhsa_private_segment_fixed_size 0
		.amdhsa_kernarg_size 112
		.amdhsa_user_sgpr_count 6
		.amdhsa_user_sgpr_private_segment_buffer 1
		.amdhsa_user_sgpr_dispatch_ptr 0
		.amdhsa_user_sgpr_queue_ptr 0
		.amdhsa_user_sgpr_kernarg_segment_ptr 1
		.amdhsa_user_sgpr_dispatch_id 0
		.amdhsa_user_sgpr_flat_scratch_init 0
		.amdhsa_user_sgpr_private_segment_size 0
		.amdhsa_wavefront_size32 1
		.amdhsa_uses_dynamic_stack 0
		.amdhsa_system_sgpr_private_segment_wavefront_offset 0
		.amdhsa_system_sgpr_workgroup_id_x 1
		.amdhsa_system_sgpr_workgroup_id_y 0
		.amdhsa_system_sgpr_workgroup_id_z 0
		.amdhsa_system_sgpr_workgroup_info 0
		.amdhsa_system_vgpr_workitem_id 0
		.amdhsa_next_free_vgpr 17
		.amdhsa_next_free_sgpr 29
		.amdhsa_reserve_vcc 1
		.amdhsa_reserve_flat_scratch 0
		.amdhsa_float_round_mode_32 0
		.amdhsa_float_round_mode_16_64 0
		.amdhsa_float_denorm_mode_32 3
		.amdhsa_float_denorm_mode_16_64 3
		.amdhsa_dx10_clamp 1
		.amdhsa_ieee_mode 1
		.amdhsa_fp16_overflow 0
		.amdhsa_workgroup_processor_mode 1
		.amdhsa_memory_ordered 1
		.amdhsa_forward_progress 1
		.amdhsa_shared_vgpr_count 0
		.amdhsa_exception_fp_ieee_invalid_op 0
		.amdhsa_exception_fp_denorm_src 0
		.amdhsa_exception_fp_ieee_div_zero 0
		.amdhsa_exception_fp_ieee_overflow 0
		.amdhsa_exception_fp_ieee_underflow 0
		.amdhsa_exception_fp_ieee_inexact 0
		.amdhsa_exception_int_div_zero 0
	.end_amdhsa_kernel
	.section	.text._ZN9rocsparseL12csrsv_kernelILj1024ELj64ELb0EiidEEvT3_NS_24const_host_device_scalarIT4_EEPKT2_PKS1_PKS3_SB_lPS3_PiS9_iPS1_21rocsparse_index_base_20rocsparse_fill_mode_20rocsparse_diag_type_b,"axG",@progbits,_ZN9rocsparseL12csrsv_kernelILj1024ELj64ELb0EiidEEvT3_NS_24const_host_device_scalarIT4_EEPKT2_PKS1_PKS3_SB_lPS3_PiS9_iPS1_21rocsparse_index_base_20rocsparse_fill_mode_20rocsparse_diag_type_b,comdat
.Lfunc_end5:
	.size	_ZN9rocsparseL12csrsv_kernelILj1024ELj64ELb0EiidEEvT3_NS_24const_host_device_scalarIT4_EEPKT2_PKS1_PKS3_SB_lPS3_PiS9_iPS1_21rocsparse_index_base_20rocsparse_fill_mode_20rocsparse_diag_type_b, .Lfunc_end5-_ZN9rocsparseL12csrsv_kernelILj1024ELj64ELb0EiidEEvT3_NS_24const_host_device_scalarIT4_EEPKT2_PKS1_PKS3_SB_lPS3_PiS9_iPS1_21rocsparse_index_base_20rocsparse_fill_mode_20rocsparse_diag_type_b
                                        ; -- End function
	.set _ZN9rocsparseL12csrsv_kernelILj1024ELj64ELb0EiidEEvT3_NS_24const_host_device_scalarIT4_EEPKT2_PKS1_PKS3_SB_lPS3_PiS9_iPS1_21rocsparse_index_base_20rocsparse_fill_mode_20rocsparse_diag_type_b.num_vgpr, 17
	.set _ZN9rocsparseL12csrsv_kernelILj1024ELj64ELb0EiidEEvT3_NS_24const_host_device_scalarIT4_EEPKT2_PKS1_PKS3_SB_lPS3_PiS9_iPS1_21rocsparse_index_base_20rocsparse_fill_mode_20rocsparse_diag_type_b.num_agpr, 0
	.set _ZN9rocsparseL12csrsv_kernelILj1024ELj64ELb0EiidEEvT3_NS_24const_host_device_scalarIT4_EEPKT2_PKS1_PKS3_SB_lPS3_PiS9_iPS1_21rocsparse_index_base_20rocsparse_fill_mode_20rocsparse_diag_type_b.numbered_sgpr, 29
	.set _ZN9rocsparseL12csrsv_kernelILj1024ELj64ELb0EiidEEvT3_NS_24const_host_device_scalarIT4_EEPKT2_PKS1_PKS3_SB_lPS3_PiS9_iPS1_21rocsparse_index_base_20rocsparse_fill_mode_20rocsparse_diag_type_b.num_named_barrier, 0
	.set _ZN9rocsparseL12csrsv_kernelILj1024ELj64ELb0EiidEEvT3_NS_24const_host_device_scalarIT4_EEPKT2_PKS1_PKS3_SB_lPS3_PiS9_iPS1_21rocsparse_index_base_20rocsparse_fill_mode_20rocsparse_diag_type_b.private_seg_size, 0
	.set _ZN9rocsparseL12csrsv_kernelILj1024ELj64ELb0EiidEEvT3_NS_24const_host_device_scalarIT4_EEPKT2_PKS1_PKS3_SB_lPS3_PiS9_iPS1_21rocsparse_index_base_20rocsparse_fill_mode_20rocsparse_diag_type_b.uses_vcc, 1
	.set _ZN9rocsparseL12csrsv_kernelILj1024ELj64ELb0EiidEEvT3_NS_24const_host_device_scalarIT4_EEPKT2_PKS1_PKS3_SB_lPS3_PiS9_iPS1_21rocsparse_index_base_20rocsparse_fill_mode_20rocsparse_diag_type_b.uses_flat_scratch, 0
	.set _ZN9rocsparseL12csrsv_kernelILj1024ELj64ELb0EiidEEvT3_NS_24const_host_device_scalarIT4_EEPKT2_PKS1_PKS3_SB_lPS3_PiS9_iPS1_21rocsparse_index_base_20rocsparse_fill_mode_20rocsparse_diag_type_b.has_dyn_sized_stack, 0
	.set _ZN9rocsparseL12csrsv_kernelILj1024ELj64ELb0EiidEEvT3_NS_24const_host_device_scalarIT4_EEPKT2_PKS1_PKS3_SB_lPS3_PiS9_iPS1_21rocsparse_index_base_20rocsparse_fill_mode_20rocsparse_diag_type_b.has_recursion, 0
	.set _ZN9rocsparseL12csrsv_kernelILj1024ELj64ELb0EiidEEvT3_NS_24const_host_device_scalarIT4_EEPKT2_PKS1_PKS3_SB_lPS3_PiS9_iPS1_21rocsparse_index_base_20rocsparse_fill_mode_20rocsparse_diag_type_b.has_indirect_call, 0
	.section	.AMDGPU.csdata,"",@progbits
; Kernel info:
; codeLenInByte = 1588
; TotalNumSgprs: 31
; NumVgprs: 17
; ScratchSize: 0
; MemoryBound: 0
; FloatMode: 240
; IeeeMode: 1
; LDSByteSize: 128 bytes/workgroup (compile time only)
; SGPRBlocks: 0
; VGPRBlocks: 2
; NumSGPRsForWavesPerEU: 31
; NumVGPRsForWavesPerEU: 17
; Occupancy: 16
; WaveLimiterHint : 1
; COMPUTE_PGM_RSRC2:SCRATCH_EN: 0
; COMPUTE_PGM_RSRC2:USER_SGPR: 6
; COMPUTE_PGM_RSRC2:TRAP_HANDLER: 0
; COMPUTE_PGM_RSRC2:TGID_X_EN: 1
; COMPUTE_PGM_RSRC2:TGID_Y_EN: 0
; COMPUTE_PGM_RSRC2:TGID_Z_EN: 0
; COMPUTE_PGM_RSRC2:TIDIG_COMP_CNT: 0
	.section	.text._ZN9rocsparseL12csrsv_kernelILj1024ELj64ELb1Eii21rocsparse_complex_numIfEEEvT3_NS_24const_host_device_scalarIT4_EEPKT2_PKS3_PKS5_SD_lPS5_PiSB_iPS3_21rocsparse_index_base_20rocsparse_fill_mode_20rocsparse_diag_type_b,"axG",@progbits,_ZN9rocsparseL12csrsv_kernelILj1024ELj64ELb1Eii21rocsparse_complex_numIfEEEvT3_NS_24const_host_device_scalarIT4_EEPKT2_PKS3_PKS5_SD_lPS5_PiSB_iPS3_21rocsparse_index_base_20rocsparse_fill_mode_20rocsparse_diag_type_b,comdat
	.globl	_ZN9rocsparseL12csrsv_kernelILj1024ELj64ELb1Eii21rocsparse_complex_numIfEEEvT3_NS_24const_host_device_scalarIT4_EEPKT2_PKS3_PKS5_SD_lPS5_PiSB_iPS3_21rocsparse_index_base_20rocsparse_fill_mode_20rocsparse_diag_type_b ; -- Begin function _ZN9rocsparseL12csrsv_kernelILj1024ELj64ELb1Eii21rocsparse_complex_numIfEEEvT3_NS_24const_host_device_scalarIT4_EEPKT2_PKS3_PKS5_SD_lPS5_PiSB_iPS3_21rocsparse_index_base_20rocsparse_fill_mode_20rocsparse_diag_type_b
	.p2align	8
	.type	_ZN9rocsparseL12csrsv_kernelILj1024ELj64ELb1Eii21rocsparse_complex_numIfEEEvT3_NS_24const_host_device_scalarIT4_EEPKT2_PKS3_PKS5_SD_lPS5_PiSB_iPS3_21rocsparse_index_base_20rocsparse_fill_mode_20rocsparse_diag_type_b,@function
_ZN9rocsparseL12csrsv_kernelILj1024ELj64ELb1Eii21rocsparse_complex_numIfEEEvT3_NS_24const_host_device_scalarIT4_EEPKT2_PKS3_PKS5_SD_lPS5_PiSB_iPS3_21rocsparse_index_base_20rocsparse_fill_mode_20rocsparse_diag_type_b: ; @_ZN9rocsparseL12csrsv_kernelILj1024ELj64ELb1Eii21rocsparse_complex_numIfEEEvT3_NS_24const_host_device_scalarIT4_EEPKT2_PKS3_PKS5_SD_lPS5_PiSB_iPS3_21rocsparse_index_base_20rocsparse_fill_mode_20rocsparse_diag_type_b
; %bb.0:
	s_clause 0x1
	s_load_dwordx4 s[8:11], s[4:5], 0x60
	s_load_dwordx2 s[0:1], s[4:5], 0x8
	s_waitcnt lgkmcnt(0)
	s_bitcmp1_b32 s11, 0
	s_mov_b32 s18, s0
	s_cselect_b32 s3, -1, 0
	s_xor_b32 s2, s3, -1
	s_and_b32 vcc_lo, exec_lo, s3
	s_cbranch_vccnz .LBB6_2
; %bb.1:
	s_load_dword s18, s[0:1], 0x0
.LBB6_2:
	s_andn2_b32 vcc_lo, exec_lo, s2
	s_cbranch_vccnz .LBB6_4
; %bb.3:
	s_load_dword s1, s[0:1], 0x4
.LBB6_4:
	s_load_dword s2, s[4:5], 0x0
	v_readfirstlane_b32 s0, v0
	s_lshr_b32 s11, s0, 6
	s_lshl_b32 s0, s6, 4
	s_add_i32 s0, s11, s0
	s_waitcnt lgkmcnt(0)
	s_cmp_ge_i32 s0, s2
	s_cbranch_scc1 .LBB6_51
; %bb.5:
	s_clause 0x2
	s_load_dword s6, s[4:5], 0x50
	s_load_dwordx2 s[2:3], s[4:5], 0x48
	s_load_dwordx4 s[12:15], s[4:5], 0x38
	v_and_b32_e32 v7, 63, v0
	v_mov_b32_e32 v8, 0
	v_mov_b32_e32 v9, 0
	s_waitcnt lgkmcnt(0)
	s_add_i32 s6, s0, s6
	s_mov_b32 s0, exec_lo
	s_ashr_i32 s7, s6, 31
	s_lshl_b64 s[6:7], s[6:7], 2
	s_add_u32 s2, s2, s6
	s_addc_u32 s3, s3, s7
	s_load_dword s16, s[2:3], 0x0
	s_load_dwordx2 s[6:7], s[4:5], 0x10
	s_waitcnt lgkmcnt(0)
	s_ashr_i32 s17, s16, 31
	s_lshl_b64 s[2:3], s[16:17], 2
	s_add_u32 s6, s6, s2
	s_addc_u32 s7, s7, s3
	s_load_dwordx2 s[6:7], s[6:7], 0x0
	v_cmpx_eq_u32_e32 0, v7
	s_cbranch_execz .LBB6_7
; %bb.6:
	s_load_dwordx4 s[20:23], s[4:5], 0x28
	s_waitcnt lgkmcnt(0)
	s_mul_i32 s19, s22, s17
	s_mul_hi_u32 s24, s22, s16
	s_mul_i32 s23, s23, s16
	s_add_i32 s19, s24, s19
	s_mul_i32 s22, s22, s16
	s_add_i32 s23, s19, s23
	s_lshl_b64 s[22:23], s[22:23], 3
	s_add_u32 s20, s20, s22
	s_addc_u32 s21, s21, s23
	s_load_dwordx2 s[20:21], s[20:21], 0x0
	s_waitcnt lgkmcnt(0)
	v_mul_f32_e64 v8, s21, -s1
	v_mul_f32_e64 v9, s21, s18
	v_fmac_f32_e64 v8, s18, s20
	v_fmac_f32_e64 v9, s1, s20
.LBB6_7:
	s_or_b32 exec_lo, exec_lo, s0
	v_subrev_nc_u32_e32 v0, s8, v7
	s_waitcnt lgkmcnt(0)
	s_sub_i32 s21, s7, s8
	s_mov_b32 s20, exec_lo
	v_add_nc_u32_e32 v0, s6, v0
	v_cmpx_gt_i32_e64 s21, v0
	s_cbranch_execz .LBB6_47
; %bb.8:
	s_clause 0x1
	s_load_dwordx2 s[18:19], s[4:5], 0x58
	s_load_dwordx4 s[4:7], s[4:5], 0x18
	v_mov_b32_e32 v10, 0
	s_cmp_eq_u32 s10, 0
	s_mov_b32 s23, 0
	s_cselect_b32 s22, -1, 0
	s_add_i32 s24, s16, s8
	s_lshl_b32 s25, s11, 3
	s_branch .LBB6_10
.LBB6_9:                                ;   in Loop: Header=BB6_10 Depth=1
	s_or_b32 exec_lo, exec_lo, s26
	s_and_b32 s0, exec_lo, s0
	s_or_b32 s23, s0, s23
	s_andn2_b32 exec_lo, exec_lo, s23
	s_cbranch_execz .LBB6_46
.LBB6_10:                               ; =>This Loop Header: Depth=1
                                        ;     Child Loop BB6_35 Depth 2
                                        ;       Child Loop BB6_36 Depth 3
	v_ashrrev_i32_e32 v1, 31, v0
	v_lshlrev_b64 v[2:3], 2, v[0:1]
	v_lshlrev_b64 v[4:5], 3, v[0:1]
	s_waitcnt lgkmcnt(0)
	v_add_co_u32 v1, vcc_lo, s4, v2
	v_add_co_ci_u32_e64 v2, null, s5, v3, vcc_lo
	v_add_co_u32 v3, vcc_lo, s6, v4
	v_add_co_ci_u32_e64 v4, null, s7, v5, vcc_lo
	global_load_dword v5, v[1:2], off slc
	global_load_dwordx2 v[1:2], v[3:4], off slc
	s_waitcnt vmcnt(1)
	v_subrev_nc_u32_e32 v3, s8, v5
	s_waitcnt vmcnt(0)
	v_cmp_eq_f32_e64 s0, 0, v1
	v_cmp_eq_f32_e64 s1, 0, v2
	v_cmp_eq_u32_e32 vcc_lo, s16, v3
	s_and_b32 s1, s0, s1
	v_cmp_ne_u32_e64 s0, s16, v3
	s_and_b32 s1, s1, vcc_lo
	s_and_b32 s1, s22, s1
	s_and_saveexec_b32 s26, s1
	s_cbranch_execz .LBB6_14
; %bb.11:                               ;   in Loop: Header=BB6_10 Depth=1
	v_mbcnt_lo_u32_b32 v1, exec_lo, 0
	s_mov_b32 s27, exec_lo
	v_cmpx_eq_u32_e32 0, v1
	s_cbranch_execz .LBB6_13
; %bb.12:                               ;   in Loop: Header=BB6_10 Depth=1
	v_mov_b32_e32 v1, s24
	global_atomic_smin v10, v1, s[18:19]
.LBB6_13:                               ;   in Loop: Header=BB6_10 Depth=1
	s_or_b32 exec_lo, exec_lo, s27
	v_mov_b32_e32 v2, 0
	v_mov_b32_e32 v1, 1.0
.LBB6_14:                               ;   in Loop: Header=BB6_10 Depth=1
	s_or_b32 exec_lo, exec_lo, s26
	s_mov_b32 s1, -1
	s_mov_b32 s26, 0
	s_cmp_lt_i32 s9, 1
	s_mov_b32 s27, 0
	s_cbranch_scc1 .LBB6_24
; %bb.15:                               ;   in Loop: Header=BB6_10 Depth=1
	s_cmp_eq_u32 s9, 1
	s_mov_b32 s27, -1
	s_cbranch_scc0 .LBB6_23
; %bb.16:                               ;   in Loop: Header=BB6_10 Depth=1
	s_mov_b32 s27, 0
	s_mov_b32 s28, exec_lo
	v_cmpx_le_i32_e64 s16, v3
	s_cbranch_execz .LBB6_22
; %bb.17:                               ;   in Loop: Header=BB6_10 Depth=1
	s_mov_b32 s27, -1
	s_and_saveexec_b32 s1, vcc_lo
	s_xor_b32 s1, exec_lo, s1
	s_cbranch_execz .LBB6_21
; %bb.18:                               ;   in Loop: Header=BB6_10 Depth=1
	s_andn2_b32 vcc_lo, exec_lo, s22
	s_cbranch_vccnz .LBB6_20
; %bb.19:                               ;   in Loop: Header=BB6_10 Depth=1
	v_mul_f32_e32 v4, v2, v2
	v_fmac_f32_e32 v4, v1, v1
	v_div_scale_f32 v5, null, v4, v4, 1.0
	v_div_scale_f32 v12, vcc_lo, 1.0, v4, 1.0
	v_rcp_f32_e32 v6, v5
	v_fma_f32 v11, -v5, v6, 1.0
	v_fmac_f32_e32 v6, v11, v6
	v_mul_f32_e32 v11, v12, v6
	v_fma_f32 v13, -v5, v11, v12
	v_fmac_f32_e32 v11, v13, v6
	v_fma_f32 v5, -v5, v11, v12
	v_div_fmas_f32 v5, v5, v6, v11
	v_fma_f32 v6, 0, v2, v1
	v_fma_f32 v11, v1, 0, -v2
	v_div_fixup_f32 v5, v5, v4, 1.0
	v_mul_f32_e32 v4, v6, v5
	v_mul_f32_e32 v5, v11, v5
	v_mov_b32_e32 v6, s25
	ds_write_b64 v6, v[4:5]
.LBB6_20:                               ;   in Loop: Header=BB6_10 Depth=1
	s_xor_b32 s27, exec_lo, -1
.LBB6_21:                               ;   in Loop: Header=BB6_10 Depth=1
	s_or_b32 exec_lo, exec_lo, s1
	s_and_b32 s27, s27, exec_lo
.LBB6_22:                               ;   in Loop: Header=BB6_10 Depth=1
	s_or_b32 exec_lo, exec_lo, s28
.LBB6_23:                               ;   in Loop: Header=BB6_10 Depth=1
	s_mov_b32 s1, 0
.LBB6_24:                               ;   in Loop: Header=BB6_10 Depth=1
	s_and_b32 vcc_lo, exec_lo, s1
	s_mov_b32 s1, 4
	s_cbranch_vccz .LBB6_31
; %bb.25:                               ;   in Loop: Header=BB6_10 Depth=1
	s_cmp_eq_u32 s9, 0
	s_cbranch_scc1 .LBB6_27
; %bb.26:                               ;   in Loop: Header=BB6_10 Depth=1
	s_mov_b32 s27, -1
	s_branch .LBB6_30
.LBB6_27:                               ;   in Loop: Header=BB6_10 Depth=1
	s_mov_b32 s27, 0
	s_mov_b32 s1, exec_lo
	v_cmpx_ge_i32_e64 s16, v3
; %bb.28:                               ;   in Loop: Header=BB6_10 Depth=1
	s_mov_b32 s26, exec_lo
	s_and_b32 s27, s0, exec_lo
; %bb.29:                               ;   in Loop: Header=BB6_10 Depth=1
	s_or_b32 exec_lo, exec_lo, s1
.LBB6_30:                               ;   in Loop: Header=BB6_10 Depth=1
	s_mov_b32 s1, 2
.LBB6_31:                               ;   in Loop: Header=BB6_10 Depth=1
	v_mov_b32_e32 v4, s1
	v_mov_b32_e32 v6, v9
	;; [unrolled: 1-line block ×3, first 2 shown]
	s_and_saveexec_b32 s0, s27
	s_cbranch_execz .LBB6_38
; %bb.32:                               ;   in Loop: Header=BB6_10 Depth=1
	v_ashrrev_i32_e32 v4, 31, v3
	s_mov_b32 s1, exec_lo
	v_lshlrev_b64 v[5:6], 2, v[3:4]
	v_add_co_u32 v5, vcc_lo, s14, v5
	v_add_co_ci_u32_e64 v6, null, s15, v6, vcc_lo
	global_load_dword v11, v[5:6], off glc dlc
	s_waitcnt vmcnt(0)
	v_cmpx_eq_u32_e32 0, v11
	s_cbranch_execz .LBB6_37
; %bb.33:                               ;   in Loop: Header=BB6_10 Depth=1
	s_mov_b32 s27, 0
	s_mov_b32 s28, 0
	s_branch .LBB6_35
	.p2align	6
.LBB6_34:                               ;   in Loop: Header=BB6_35 Depth=2
	global_load_dword v11, v[5:6], off glc dlc
	s_cmpk_lt_u32 s28, 0xf43
	s_cselect_b32 s29, -1, 0
	s_cmp_lg_u32 s29, 0
	s_addc_u32 s28, s28, 0
	s_waitcnt vmcnt(0)
	v_cmp_ne_u32_e32 vcc_lo, 0, v11
	s_or_b32 s27, vcc_lo, s27
	s_andn2_b32 exec_lo, exec_lo, s27
	s_cbranch_execz .LBB6_37
.LBB6_35:                               ;   Parent Loop BB6_10 Depth=1
                                        ; =>  This Loop Header: Depth=2
                                        ;       Child Loop BB6_36 Depth 3
	s_cmp_eq_u32 s28, 0
	s_mov_b32 s29, s28
	s_cbranch_scc1 .LBB6_34
.LBB6_36:                               ;   Parent Loop BB6_10 Depth=1
                                        ;     Parent Loop BB6_35 Depth=2
                                        ; =>    This Inner Loop Header: Depth=3
	s_add_i32 s29, s29, -1
	s_sleep 1
	s_cmp_eq_u32 s29, 0
	s_cbranch_scc0 .LBB6_36
	s_branch .LBB6_34
.LBB6_37:                               ;   in Loop: Header=BB6_10 Depth=1
	s_or_b32 exec_lo, exec_lo, s1
	v_lshlrev_b64 v[3:4], 3, v[3:4]
	s_waitcnt lgkmcnt(0)
	s_waitcnt_vscnt null, 0x0
	buffer_gl1_inv
	buffer_gl0_inv
	s_andn2_b32 s26, s26, exec_lo
	v_add_co_u32 v3, vcc_lo, s12, v3
	v_add_co_ci_u32_e64 v4, null, s13, v4, vcc_lo
	global_load_dwordx2 v[3:4], v[3:4], off
	s_waitcnt vmcnt(0)
	v_fma_f32 v5, -v1, v3, v8
	v_fma_f32 v3, -v2, v3, v9
	v_fmac_f32_e32 v5, v2, v4
	v_fma_f32 v6, -v1, v4, v3
	v_mov_b32_e32 v4, 0
.LBB6_38:                               ;   in Loop: Header=BB6_10 Depth=1
	s_or_b32 exec_lo, exec_lo, s0
	s_and_saveexec_b32 s0, s26
	s_cbranch_execz .LBB6_42
; %bb.39:                               ;   in Loop: Header=BB6_10 Depth=1
	s_andn2_b32 vcc_lo, exec_lo, s22
	s_cbranch_vccnz .LBB6_41
; %bb.40:                               ;   in Loop: Header=BB6_10 Depth=1
	v_mul_f32_e32 v3, v2, v2
	v_fmac_f32_e32 v3, v1, v1
	v_div_scale_f32 v4, null, v3, v3, 1.0
	v_div_scale_f32 v11, vcc_lo, 1.0, v3, 1.0
	v_rcp_f32_e32 v5, v4
	v_fma_f32 v6, -v4, v5, 1.0
	v_fmac_f32_e32 v5, v6, v5
	v_mul_f32_e32 v6, v11, v5
	v_fma_f32 v12, -v4, v6, v11
	v_fmac_f32_e32 v6, v12, v5
	v_fma_f32 v4, -v4, v6, v11
	v_div_fmas_f32 v4, v4, v5, v6
	v_fma_f32 v5, 0, v2, v1
	v_fma_f32 v2, v1, 0, -v2
	v_div_fixup_f32 v3, v4, v3, 1.0
	v_mul_f32_e32 v1, v5, v3
	v_mul_f32_e32 v2, v2, v3
	v_mov_b32_e32 v3, s25
	ds_write_b64 v3, v[1:2]
.LBB6_41:                               ;   in Loop: Header=BB6_10 Depth=1
	v_mov_b32_e32 v4, 2
	v_mov_b32_e32 v5, v8
	;; [unrolled: 1-line block ×3, first 2 shown]
.LBB6_42:                               ;   in Loop: Header=BB6_10 Depth=1
	s_or_b32 exec_lo, exec_lo, s0
	v_mov_b32_e32 v9, v6
	v_mov_b32_e32 v8, v5
	s_mov_b32 s0, -1
	s_mov_b32 s1, -1
	s_mov_b32 s26, exec_lo
	v_cmpx_gt_i32_e32 4, v4
; %bb.43:                               ;   in Loop: Header=BB6_10 Depth=1
	v_cmp_eq_u32_e32 vcc_lo, 0, v4
	s_orn2_b32 s1, vcc_lo, exec_lo
; %bb.44:                               ;   in Loop: Header=BB6_10 Depth=1
	s_or_b32 exec_lo, exec_lo, s26
	s_and_saveexec_b32 s26, s1
	s_cbranch_execz .LBB6_9
; %bb.45:                               ;   in Loop: Header=BB6_10 Depth=1
	v_add_nc_u32_e32 v0, 64, v0
	v_cmp_le_i32_e32 vcc_lo, s21, v0
	s_orn2_b32 s0, vcc_lo, exec_lo
	s_branch .LBB6_9
.LBB6_46:
	s_or_b32 exec_lo, exec_lo, s23
.LBB6_47:
	s_or_b32 exec_lo, exec_lo, s20
	v_mbcnt_lo_u32_b32 v0, -1, 0
	s_cmp_lg_u32 s10, 0
	v_or_b32_e32 v1, 32, v0
	v_xor_b32_e32 v3, 16, v0
	v_xor_b32_e32 v5, 8, v0
	v_cmp_gt_i32_e32 vcc_lo, 32, v1
	v_cndmask_b32_e32 v1, v0, v1, vcc_lo
	v_cmp_gt_i32_e32 vcc_lo, 32, v3
	v_lshlrev_b32_e32 v1, 2, v1
	v_cndmask_b32_e32 v3, v0, v3, vcc_lo
	v_cmp_gt_i32_e32 vcc_lo, 32, v5
	ds_bpermute_b32 v2, v1, v8
	ds_bpermute_b32 v1, v1, v9
	v_lshlrev_b32_e32 v3, 2, v3
	v_cndmask_b32_e32 v5, v0, v5, vcc_lo
	v_lshlrev_b32_e32 v5, 2, v5
	s_waitcnt lgkmcnt(1)
	v_add_f32_e32 v2, v8, v2
	s_waitcnt lgkmcnt(0)
	v_add_f32_e32 v1, v9, v1
	ds_bpermute_b32 v4, v3, v2
	ds_bpermute_b32 v3, v3, v1
	s_waitcnt lgkmcnt(1)
	v_add_f32_e32 v2, v2, v4
	s_waitcnt lgkmcnt(0)
	v_add_f32_e32 v1, v1, v3
	ds_bpermute_b32 v3, v5, v2
	ds_bpermute_b32 v4, v5, v1
	v_xor_b32_e32 v5, 4, v0
	v_cmp_gt_i32_e32 vcc_lo, 32, v5
	v_cndmask_b32_e32 v5, v0, v5, vcc_lo
	v_lshlrev_b32_e32 v5, 2, v5
	s_waitcnt lgkmcnt(1)
	v_add_f32_e32 v2, v2, v3
	s_waitcnt lgkmcnt(0)
	v_add_f32_e32 v1, v1, v4
	ds_bpermute_b32 v3, v5, v2
	ds_bpermute_b32 v4, v5, v1
	v_xor_b32_e32 v5, 2, v0
	v_cmp_gt_i32_e32 vcc_lo, 32, v5
	v_cndmask_b32_e32 v5, v0, v5, vcc_lo
	v_lshlrev_b32_e32 v5, 2, v5
	;; [unrolled: 10-line block ×3, first 2 shown]
	s_waitcnt lgkmcnt(1)
	v_add_f32_e32 v2, v2, v3
	s_waitcnt lgkmcnt(0)
	v_add_f32_e32 v1, v1, v4
	ds_bpermute_b32 v3, v0, v2
	ds_bpermute_b32 v4, v0, v1
	s_waitcnt lgkmcnt(1)
	v_add_f32_e32 v0, v2, v3
	s_waitcnt lgkmcnt(0)
	v_add_f32_e32 v1, v1, v4
	s_cbranch_scc1 .LBB6_49
; %bb.48:
	s_lshl_b32 s0, s11, 3
	s_waitcnt_vscnt null, 0x0
	buffer_gl0_inv
	v_mov_b32_e32 v2, s0
	ds_read_b64 v[2:3], v2
	s_waitcnt lgkmcnt(0)
	v_mul_f32_e64 v4, v3, -v1
	v_mul_f32_e32 v3, v0, v3
	v_fmac_f32_e32 v4, v0, v2
	v_fmac_f32_e32 v3, v1, v2
	v_mov_b32_e32 v0, v4
	v_mov_b32_e32 v1, v3
.LBB6_49:
	s_mov_b32 s0, exec_lo
	v_cmpx_eq_u32_e32 63, v7
	s_cbranch_execz .LBB6_51
; %bb.50:
	s_lshl_b64 s[0:1], s[16:17], 3
	v_mov_b32_e32 v2, 0
	s_add_u32 s0, s12, s0
	v_mov_b32_e32 v3, 1
	s_addc_u32 s1, s13, s1
	s_add_u32 s2, s14, s2
	s_addc_u32 s3, s15, s3
	global_store_dwordx2 v2, v[0:1], s[0:1] glc slc
	s_waitcnt_vscnt null, 0x0
	global_store_dword v2, v3, s[2:3]
.LBB6_51:
	s_endpgm
	.section	.rodata,"a",@progbits
	.p2align	6, 0x0
	.amdhsa_kernel _ZN9rocsparseL12csrsv_kernelILj1024ELj64ELb1Eii21rocsparse_complex_numIfEEEvT3_NS_24const_host_device_scalarIT4_EEPKT2_PKS3_PKS5_SD_lPS5_PiSB_iPS3_21rocsparse_index_base_20rocsparse_fill_mode_20rocsparse_diag_type_b
		.amdhsa_group_segment_fixed_size 128
		.amdhsa_private_segment_fixed_size 0
		.amdhsa_kernarg_size 112
		.amdhsa_user_sgpr_count 6
		.amdhsa_user_sgpr_private_segment_buffer 1
		.amdhsa_user_sgpr_dispatch_ptr 0
		.amdhsa_user_sgpr_queue_ptr 0
		.amdhsa_user_sgpr_kernarg_segment_ptr 1
		.amdhsa_user_sgpr_dispatch_id 0
		.amdhsa_user_sgpr_flat_scratch_init 0
		.amdhsa_user_sgpr_private_segment_size 0
		.amdhsa_wavefront_size32 1
		.amdhsa_uses_dynamic_stack 0
		.amdhsa_system_sgpr_private_segment_wavefront_offset 0
		.amdhsa_system_sgpr_workgroup_id_x 1
		.amdhsa_system_sgpr_workgroup_id_y 0
		.amdhsa_system_sgpr_workgroup_id_z 0
		.amdhsa_system_sgpr_workgroup_info 0
		.amdhsa_system_vgpr_workitem_id 0
		.amdhsa_next_free_vgpr 14
		.amdhsa_next_free_sgpr 30
		.amdhsa_reserve_vcc 1
		.amdhsa_reserve_flat_scratch 0
		.amdhsa_float_round_mode_32 0
		.amdhsa_float_round_mode_16_64 0
		.amdhsa_float_denorm_mode_32 3
		.amdhsa_float_denorm_mode_16_64 3
		.amdhsa_dx10_clamp 1
		.amdhsa_ieee_mode 1
		.amdhsa_fp16_overflow 0
		.amdhsa_workgroup_processor_mode 1
		.amdhsa_memory_ordered 1
		.amdhsa_forward_progress 1
		.amdhsa_shared_vgpr_count 0
		.amdhsa_exception_fp_ieee_invalid_op 0
		.amdhsa_exception_fp_denorm_src 0
		.amdhsa_exception_fp_ieee_div_zero 0
		.amdhsa_exception_fp_ieee_overflow 0
		.amdhsa_exception_fp_ieee_underflow 0
		.amdhsa_exception_fp_ieee_inexact 0
		.amdhsa_exception_int_div_zero 0
	.end_amdhsa_kernel
	.section	.text._ZN9rocsparseL12csrsv_kernelILj1024ELj64ELb1Eii21rocsparse_complex_numIfEEEvT3_NS_24const_host_device_scalarIT4_EEPKT2_PKS3_PKS5_SD_lPS5_PiSB_iPS3_21rocsparse_index_base_20rocsparse_fill_mode_20rocsparse_diag_type_b,"axG",@progbits,_ZN9rocsparseL12csrsv_kernelILj1024ELj64ELb1Eii21rocsparse_complex_numIfEEEvT3_NS_24const_host_device_scalarIT4_EEPKT2_PKS3_PKS5_SD_lPS5_PiSB_iPS3_21rocsparse_index_base_20rocsparse_fill_mode_20rocsparse_diag_type_b,comdat
.Lfunc_end6:
	.size	_ZN9rocsparseL12csrsv_kernelILj1024ELj64ELb1Eii21rocsparse_complex_numIfEEEvT3_NS_24const_host_device_scalarIT4_EEPKT2_PKS3_PKS5_SD_lPS5_PiSB_iPS3_21rocsparse_index_base_20rocsparse_fill_mode_20rocsparse_diag_type_b, .Lfunc_end6-_ZN9rocsparseL12csrsv_kernelILj1024ELj64ELb1Eii21rocsparse_complex_numIfEEEvT3_NS_24const_host_device_scalarIT4_EEPKT2_PKS3_PKS5_SD_lPS5_PiSB_iPS3_21rocsparse_index_base_20rocsparse_fill_mode_20rocsparse_diag_type_b
                                        ; -- End function
	.set _ZN9rocsparseL12csrsv_kernelILj1024ELj64ELb1Eii21rocsparse_complex_numIfEEEvT3_NS_24const_host_device_scalarIT4_EEPKT2_PKS3_PKS5_SD_lPS5_PiSB_iPS3_21rocsparse_index_base_20rocsparse_fill_mode_20rocsparse_diag_type_b.num_vgpr, 14
	.set _ZN9rocsparseL12csrsv_kernelILj1024ELj64ELb1Eii21rocsparse_complex_numIfEEEvT3_NS_24const_host_device_scalarIT4_EEPKT2_PKS3_PKS5_SD_lPS5_PiSB_iPS3_21rocsparse_index_base_20rocsparse_fill_mode_20rocsparse_diag_type_b.num_agpr, 0
	.set _ZN9rocsparseL12csrsv_kernelILj1024ELj64ELb1Eii21rocsparse_complex_numIfEEEvT3_NS_24const_host_device_scalarIT4_EEPKT2_PKS3_PKS5_SD_lPS5_PiSB_iPS3_21rocsparse_index_base_20rocsparse_fill_mode_20rocsparse_diag_type_b.numbered_sgpr, 30
	.set _ZN9rocsparseL12csrsv_kernelILj1024ELj64ELb1Eii21rocsparse_complex_numIfEEEvT3_NS_24const_host_device_scalarIT4_EEPKT2_PKS3_PKS5_SD_lPS5_PiSB_iPS3_21rocsparse_index_base_20rocsparse_fill_mode_20rocsparse_diag_type_b.num_named_barrier, 0
	.set _ZN9rocsparseL12csrsv_kernelILj1024ELj64ELb1Eii21rocsparse_complex_numIfEEEvT3_NS_24const_host_device_scalarIT4_EEPKT2_PKS3_PKS5_SD_lPS5_PiSB_iPS3_21rocsparse_index_base_20rocsparse_fill_mode_20rocsparse_diag_type_b.private_seg_size, 0
	.set _ZN9rocsparseL12csrsv_kernelILj1024ELj64ELb1Eii21rocsparse_complex_numIfEEEvT3_NS_24const_host_device_scalarIT4_EEPKT2_PKS3_PKS5_SD_lPS5_PiSB_iPS3_21rocsparse_index_base_20rocsparse_fill_mode_20rocsparse_diag_type_b.uses_vcc, 1
	.set _ZN9rocsparseL12csrsv_kernelILj1024ELj64ELb1Eii21rocsparse_complex_numIfEEEvT3_NS_24const_host_device_scalarIT4_EEPKT2_PKS3_PKS5_SD_lPS5_PiSB_iPS3_21rocsparse_index_base_20rocsparse_fill_mode_20rocsparse_diag_type_b.uses_flat_scratch, 0
	.set _ZN9rocsparseL12csrsv_kernelILj1024ELj64ELb1Eii21rocsparse_complex_numIfEEEvT3_NS_24const_host_device_scalarIT4_EEPKT2_PKS3_PKS5_SD_lPS5_PiSB_iPS3_21rocsparse_index_base_20rocsparse_fill_mode_20rocsparse_diag_type_b.has_dyn_sized_stack, 0
	.set _ZN9rocsparseL12csrsv_kernelILj1024ELj64ELb1Eii21rocsparse_complex_numIfEEEvT3_NS_24const_host_device_scalarIT4_EEPKT2_PKS3_PKS5_SD_lPS5_PiSB_iPS3_21rocsparse_index_base_20rocsparse_fill_mode_20rocsparse_diag_type_b.has_recursion, 0
	.set _ZN9rocsparseL12csrsv_kernelILj1024ELj64ELb1Eii21rocsparse_complex_numIfEEEvT3_NS_24const_host_device_scalarIT4_EEPKT2_PKS3_PKS5_SD_lPS5_PiSB_iPS3_21rocsparse_index_base_20rocsparse_fill_mode_20rocsparse_diag_type_b.has_indirect_call, 0
	.section	.AMDGPU.csdata,"",@progbits
; Kernel info:
; codeLenInByte = 1784
; TotalNumSgprs: 32
; NumVgprs: 14
; ScratchSize: 0
; MemoryBound: 0
; FloatMode: 240
; IeeeMode: 1
; LDSByteSize: 128 bytes/workgroup (compile time only)
; SGPRBlocks: 0
; VGPRBlocks: 1
; NumSGPRsForWavesPerEU: 32
; NumVGPRsForWavesPerEU: 14
; Occupancy: 16
; WaveLimiterHint : 1
; COMPUTE_PGM_RSRC2:SCRATCH_EN: 0
; COMPUTE_PGM_RSRC2:USER_SGPR: 6
; COMPUTE_PGM_RSRC2:TRAP_HANDLER: 0
; COMPUTE_PGM_RSRC2:TGID_X_EN: 1
; COMPUTE_PGM_RSRC2:TGID_Y_EN: 0
; COMPUTE_PGM_RSRC2:TGID_Z_EN: 0
; COMPUTE_PGM_RSRC2:TIDIG_COMP_CNT: 0
	.section	.text._ZN9rocsparseL12csrsv_kernelILj1024ELj32ELb0Eii21rocsparse_complex_numIfEEEvT3_NS_24const_host_device_scalarIT4_EEPKT2_PKS3_PKS5_SD_lPS5_PiSB_iPS3_21rocsparse_index_base_20rocsparse_fill_mode_20rocsparse_diag_type_b,"axG",@progbits,_ZN9rocsparseL12csrsv_kernelILj1024ELj32ELb0Eii21rocsparse_complex_numIfEEEvT3_NS_24const_host_device_scalarIT4_EEPKT2_PKS3_PKS5_SD_lPS5_PiSB_iPS3_21rocsparse_index_base_20rocsparse_fill_mode_20rocsparse_diag_type_b,comdat
	.globl	_ZN9rocsparseL12csrsv_kernelILj1024ELj32ELb0Eii21rocsparse_complex_numIfEEEvT3_NS_24const_host_device_scalarIT4_EEPKT2_PKS3_PKS5_SD_lPS5_PiSB_iPS3_21rocsparse_index_base_20rocsparse_fill_mode_20rocsparse_diag_type_b ; -- Begin function _ZN9rocsparseL12csrsv_kernelILj1024ELj32ELb0Eii21rocsparse_complex_numIfEEEvT3_NS_24const_host_device_scalarIT4_EEPKT2_PKS3_PKS5_SD_lPS5_PiSB_iPS3_21rocsparse_index_base_20rocsparse_fill_mode_20rocsparse_diag_type_b
	.p2align	8
	.type	_ZN9rocsparseL12csrsv_kernelILj1024ELj32ELb0Eii21rocsparse_complex_numIfEEEvT3_NS_24const_host_device_scalarIT4_EEPKT2_PKS3_PKS5_SD_lPS5_PiSB_iPS3_21rocsparse_index_base_20rocsparse_fill_mode_20rocsparse_diag_type_b,@function
_ZN9rocsparseL12csrsv_kernelILj1024ELj32ELb0Eii21rocsparse_complex_numIfEEEvT3_NS_24const_host_device_scalarIT4_EEPKT2_PKS3_PKS5_SD_lPS5_PiSB_iPS3_21rocsparse_index_base_20rocsparse_fill_mode_20rocsparse_diag_type_b: ; @_ZN9rocsparseL12csrsv_kernelILj1024ELj32ELb0Eii21rocsparse_complex_numIfEEEvT3_NS_24const_host_device_scalarIT4_EEPKT2_PKS3_PKS5_SD_lPS5_PiSB_iPS3_21rocsparse_index_base_20rocsparse_fill_mode_20rocsparse_diag_type_b
; %bb.0:
	s_clause 0x1
	s_load_dwordx4 s[8:11], s[4:5], 0x60
	s_load_dwordx2 s[0:1], s[4:5], 0x8
	s_waitcnt lgkmcnt(0)
	s_bitcmp1_b32 s11, 0
	s_mov_b32 s18, s0
	s_cselect_b32 s3, -1, 0
	s_xor_b32 s2, s3, -1
	s_and_b32 vcc_lo, exec_lo, s3
	s_cbranch_vccnz .LBB7_2
; %bb.1:
	s_load_dword s18, s[0:1], 0x0
.LBB7_2:
	s_andn2_b32 vcc_lo, exec_lo, s2
	s_cbranch_vccnz .LBB7_4
; %bb.3:
	s_load_dword s1, s[0:1], 0x4
.LBB7_4:
	s_load_dword s2, s[4:5], 0x0
	v_readfirstlane_b32 s0, v0
	s_lshr_b32 s11, s0, 5
	s_lshl_b32 s0, s6, 5
	s_add_i32 s0, s11, s0
	s_waitcnt lgkmcnt(0)
	s_cmp_ge_i32 s0, s2
	s_cbranch_scc1 .LBB7_49
; %bb.5:
	s_clause 0x2
	s_load_dword s6, s[4:5], 0x50
	s_load_dwordx2 s[2:3], s[4:5], 0x48
	s_load_dwordx4 s[12:15], s[4:5], 0x38
	v_and_b32_e32 v7, 31, v0
	v_mov_b32_e32 v8, 0
	v_mov_b32_e32 v9, 0
	s_waitcnt lgkmcnt(0)
	s_add_i32 s6, s0, s6
	s_mov_b32 s0, exec_lo
	s_ashr_i32 s7, s6, 31
	s_lshl_b64 s[6:7], s[6:7], 2
	s_add_u32 s2, s2, s6
	s_addc_u32 s3, s3, s7
	s_load_dword s16, s[2:3], 0x0
	s_load_dwordx2 s[6:7], s[4:5], 0x10
	s_waitcnt lgkmcnt(0)
	s_ashr_i32 s17, s16, 31
	s_lshl_b64 s[2:3], s[16:17], 2
	s_add_u32 s6, s6, s2
	s_addc_u32 s7, s7, s3
	s_load_dwordx2 s[6:7], s[6:7], 0x0
	v_cmpx_eq_u32_e32 0, v7
	s_cbranch_execz .LBB7_7
; %bb.6:
	s_load_dwordx4 s[20:23], s[4:5], 0x28
	s_waitcnt lgkmcnt(0)
	s_mul_i32 s19, s22, s17
	s_mul_hi_u32 s24, s22, s16
	s_mul_i32 s23, s23, s16
	s_add_i32 s19, s24, s19
	s_mul_i32 s22, s22, s16
	s_add_i32 s23, s19, s23
	s_lshl_b64 s[22:23], s[22:23], 3
	s_add_u32 s20, s20, s22
	s_addc_u32 s21, s21, s23
	s_load_dwordx2 s[20:21], s[20:21], 0x0
	s_waitcnt lgkmcnt(0)
	v_mul_f32_e64 v8, s21, -s1
	v_mul_f32_e64 v9, s21, s18
	v_fmac_f32_e64 v8, s18, s20
	v_fmac_f32_e64 v9, s1, s20
.LBB7_7:
	s_or_b32 exec_lo, exec_lo, s0
	v_subrev_nc_u32_e32 v0, s8, v7
	s_waitcnt lgkmcnt(0)
	s_sub_i32 s21, s7, s8
	s_mov_b32 s20, exec_lo
	v_add_nc_u32_e32 v0, s6, v0
	v_cmpx_gt_i32_e64 s21, v0
	s_cbranch_execz .LBB7_45
; %bb.8:
	s_clause 0x1
	s_load_dwordx2 s[18:19], s[4:5], 0x58
	s_load_dwordx4 s[4:7], s[4:5], 0x18
	v_mov_b32_e32 v10, 0
	s_cmp_eq_u32 s10, 0
	s_mov_b32 s23, 0
	s_cselect_b32 s22, -1, 0
	s_add_i32 s24, s16, s8
	s_lshl_b32 s25, s11, 3
	s_branch .LBB7_10
.LBB7_9:                                ;   in Loop: Header=BB7_10 Depth=1
	s_or_b32 exec_lo, exec_lo, s26
	s_and_b32 s0, exec_lo, s0
	s_or_b32 s23, s0, s23
	s_andn2_b32 exec_lo, exec_lo, s23
	s_cbranch_execz .LBB7_44
.LBB7_10:                               ; =>This Loop Header: Depth=1
                                        ;     Child Loop BB7_34 Depth 2
	v_ashrrev_i32_e32 v1, 31, v0
	v_lshlrev_b64 v[2:3], 2, v[0:1]
	v_lshlrev_b64 v[4:5], 3, v[0:1]
	s_waitcnt lgkmcnt(0)
	v_add_co_u32 v1, vcc_lo, s4, v2
	v_add_co_ci_u32_e64 v2, null, s5, v3, vcc_lo
	v_add_co_u32 v3, vcc_lo, s6, v4
	v_add_co_ci_u32_e64 v4, null, s7, v5, vcc_lo
	global_load_dword v5, v[1:2], off slc
	global_load_dwordx2 v[1:2], v[3:4], off slc
	s_waitcnt vmcnt(1)
	v_subrev_nc_u32_e32 v3, s8, v5
	s_waitcnt vmcnt(0)
	v_cmp_eq_f32_e64 s0, 0, v1
	v_cmp_eq_f32_e64 s1, 0, v2
	v_cmp_eq_u32_e32 vcc_lo, s16, v3
	s_and_b32 s1, s0, s1
	v_cmp_ne_u32_e64 s0, s16, v3
	s_and_b32 s1, s1, vcc_lo
	s_and_b32 s1, s22, s1
	s_and_saveexec_b32 s26, s1
	s_cbranch_execz .LBB7_14
; %bb.11:                               ;   in Loop: Header=BB7_10 Depth=1
	v_mbcnt_lo_u32_b32 v1, exec_lo, 0
	s_mov_b32 s27, exec_lo
	v_cmpx_eq_u32_e32 0, v1
	s_cbranch_execz .LBB7_13
; %bb.12:                               ;   in Loop: Header=BB7_10 Depth=1
	v_mov_b32_e32 v1, s24
	global_atomic_smin v10, v1, s[18:19]
.LBB7_13:                               ;   in Loop: Header=BB7_10 Depth=1
	s_or_b32 exec_lo, exec_lo, s27
	v_mov_b32_e32 v2, 0
	v_mov_b32_e32 v1, 1.0
.LBB7_14:                               ;   in Loop: Header=BB7_10 Depth=1
	s_or_b32 exec_lo, exec_lo, s26
	s_mov_b32 s1, -1
	s_mov_b32 s26, 0
	s_cmp_lt_i32 s9, 1
	s_mov_b32 s27, 0
	s_cbranch_scc1 .LBB7_24
; %bb.15:                               ;   in Loop: Header=BB7_10 Depth=1
	s_cmp_eq_u32 s9, 1
	s_mov_b32 s27, -1
	s_cbranch_scc0 .LBB7_23
; %bb.16:                               ;   in Loop: Header=BB7_10 Depth=1
	s_mov_b32 s27, 0
	s_mov_b32 s28, exec_lo
	v_cmpx_le_i32_e64 s16, v3
	s_cbranch_execz .LBB7_22
; %bb.17:                               ;   in Loop: Header=BB7_10 Depth=1
	s_mov_b32 s27, -1
	s_and_saveexec_b32 s1, vcc_lo
	s_xor_b32 s1, exec_lo, s1
	s_cbranch_execz .LBB7_21
; %bb.18:                               ;   in Loop: Header=BB7_10 Depth=1
	s_andn2_b32 vcc_lo, exec_lo, s22
	s_cbranch_vccnz .LBB7_20
; %bb.19:                               ;   in Loop: Header=BB7_10 Depth=1
	v_mul_f32_e32 v4, v2, v2
	v_fmac_f32_e32 v4, v1, v1
	v_div_scale_f32 v5, null, v4, v4, 1.0
	v_div_scale_f32 v12, vcc_lo, 1.0, v4, 1.0
	v_rcp_f32_e32 v6, v5
	v_fma_f32 v11, -v5, v6, 1.0
	v_fmac_f32_e32 v6, v11, v6
	v_mul_f32_e32 v11, v12, v6
	v_fma_f32 v13, -v5, v11, v12
	v_fmac_f32_e32 v11, v13, v6
	v_fma_f32 v5, -v5, v11, v12
	v_div_fmas_f32 v5, v5, v6, v11
	v_fma_f32 v6, 0, v2, v1
	v_fma_f32 v11, v1, 0, -v2
	v_div_fixup_f32 v5, v5, v4, 1.0
	v_mul_f32_e32 v4, v6, v5
	v_mul_f32_e32 v5, v11, v5
	v_mov_b32_e32 v6, s25
	ds_write_b64 v6, v[4:5]
.LBB7_20:                               ;   in Loop: Header=BB7_10 Depth=1
	s_xor_b32 s27, exec_lo, -1
.LBB7_21:                               ;   in Loop: Header=BB7_10 Depth=1
	s_or_b32 exec_lo, exec_lo, s1
	s_and_b32 s27, s27, exec_lo
.LBB7_22:                               ;   in Loop: Header=BB7_10 Depth=1
	s_or_b32 exec_lo, exec_lo, s28
.LBB7_23:                               ;   in Loop: Header=BB7_10 Depth=1
	s_mov_b32 s1, 0
.LBB7_24:                               ;   in Loop: Header=BB7_10 Depth=1
	s_and_b32 vcc_lo, exec_lo, s1
	s_mov_b32 s1, 4
	s_cbranch_vccz .LBB7_31
; %bb.25:                               ;   in Loop: Header=BB7_10 Depth=1
	s_cmp_eq_u32 s9, 0
	s_cbranch_scc1 .LBB7_27
; %bb.26:                               ;   in Loop: Header=BB7_10 Depth=1
	s_mov_b32 s27, -1
	s_branch .LBB7_30
.LBB7_27:                               ;   in Loop: Header=BB7_10 Depth=1
	s_mov_b32 s27, 0
	s_mov_b32 s1, exec_lo
	v_cmpx_ge_i32_e64 s16, v3
; %bb.28:                               ;   in Loop: Header=BB7_10 Depth=1
	s_mov_b32 s26, exec_lo
	s_and_b32 s27, s0, exec_lo
; %bb.29:                               ;   in Loop: Header=BB7_10 Depth=1
	s_or_b32 exec_lo, exec_lo, s1
.LBB7_30:                               ;   in Loop: Header=BB7_10 Depth=1
	s_mov_b32 s1, 2
.LBB7_31:                               ;   in Loop: Header=BB7_10 Depth=1
	v_mov_b32_e32 v4, s1
	v_mov_b32_e32 v6, v9
	;; [unrolled: 1-line block ×3, first 2 shown]
	s_and_saveexec_b32 s0, s27
	s_cbranch_execz .LBB7_36
; %bb.32:                               ;   in Loop: Header=BB7_10 Depth=1
	v_ashrrev_i32_e32 v4, 31, v3
	s_mov_b32 s1, exec_lo
	v_lshlrev_b64 v[5:6], 2, v[3:4]
	v_add_co_u32 v5, vcc_lo, s14, v5
	v_add_co_ci_u32_e64 v6, null, s15, v6, vcc_lo
	global_load_dword v11, v[5:6], off glc dlc
	s_waitcnt vmcnt(0)
	v_cmpx_eq_u32_e32 0, v11
	s_cbranch_execz .LBB7_35
; %bb.33:                               ;   in Loop: Header=BB7_10 Depth=1
	s_mov_b32 s27, 0
.LBB7_34:                               ;   Parent Loop BB7_10 Depth=1
                                        ; =>  This Inner Loop Header: Depth=2
	global_load_dword v11, v[5:6], off glc dlc
	s_waitcnt vmcnt(0)
	v_cmp_ne_u32_e32 vcc_lo, 0, v11
	s_or_b32 s27, vcc_lo, s27
	s_andn2_b32 exec_lo, exec_lo, s27
	s_cbranch_execnz .LBB7_34
.LBB7_35:                               ;   in Loop: Header=BB7_10 Depth=1
	s_or_b32 exec_lo, exec_lo, s1
	v_lshlrev_b64 v[3:4], 3, v[3:4]
	s_waitcnt lgkmcnt(0)
	s_waitcnt_vscnt null, 0x0
	buffer_gl1_inv
	buffer_gl0_inv
	s_andn2_b32 s26, s26, exec_lo
	v_add_co_u32 v3, vcc_lo, s12, v3
	v_add_co_ci_u32_e64 v4, null, s13, v4, vcc_lo
	global_load_dwordx2 v[3:4], v[3:4], off
	s_waitcnt vmcnt(0)
	v_fma_f32 v5, -v1, v3, v8
	v_fma_f32 v3, -v2, v3, v9
	v_fmac_f32_e32 v5, v2, v4
	v_fma_f32 v6, -v1, v4, v3
	v_mov_b32_e32 v4, 0
.LBB7_36:                               ;   in Loop: Header=BB7_10 Depth=1
	s_or_b32 exec_lo, exec_lo, s0
	s_and_saveexec_b32 s0, s26
	s_cbranch_execz .LBB7_40
; %bb.37:                               ;   in Loop: Header=BB7_10 Depth=1
	s_andn2_b32 vcc_lo, exec_lo, s22
	s_cbranch_vccnz .LBB7_39
; %bb.38:                               ;   in Loop: Header=BB7_10 Depth=1
	v_mul_f32_e32 v3, v2, v2
	v_fmac_f32_e32 v3, v1, v1
	v_div_scale_f32 v4, null, v3, v3, 1.0
	v_div_scale_f32 v11, vcc_lo, 1.0, v3, 1.0
	v_rcp_f32_e32 v5, v4
	v_fma_f32 v6, -v4, v5, 1.0
	v_fmac_f32_e32 v5, v6, v5
	v_mul_f32_e32 v6, v11, v5
	v_fma_f32 v12, -v4, v6, v11
	v_fmac_f32_e32 v6, v12, v5
	v_fma_f32 v4, -v4, v6, v11
	v_div_fmas_f32 v4, v4, v5, v6
	v_fma_f32 v5, 0, v2, v1
	v_fma_f32 v2, v1, 0, -v2
	v_div_fixup_f32 v3, v4, v3, 1.0
	v_mul_f32_e32 v1, v5, v3
	v_mul_f32_e32 v2, v2, v3
	v_mov_b32_e32 v3, s25
	ds_write_b64 v3, v[1:2]
.LBB7_39:                               ;   in Loop: Header=BB7_10 Depth=1
	v_mov_b32_e32 v4, 2
	v_mov_b32_e32 v5, v8
	;; [unrolled: 1-line block ×3, first 2 shown]
.LBB7_40:                               ;   in Loop: Header=BB7_10 Depth=1
	s_or_b32 exec_lo, exec_lo, s0
	v_mov_b32_e32 v9, v6
	v_mov_b32_e32 v8, v5
	s_mov_b32 s0, -1
	s_mov_b32 s1, -1
	s_mov_b32 s26, exec_lo
	v_cmpx_gt_i32_e32 4, v4
; %bb.41:                               ;   in Loop: Header=BB7_10 Depth=1
	v_cmp_eq_u32_e32 vcc_lo, 0, v4
	s_orn2_b32 s1, vcc_lo, exec_lo
; %bb.42:                               ;   in Loop: Header=BB7_10 Depth=1
	s_or_b32 exec_lo, exec_lo, s26
	s_and_saveexec_b32 s26, s1
	s_cbranch_execz .LBB7_9
; %bb.43:                               ;   in Loop: Header=BB7_10 Depth=1
	v_add_nc_u32_e32 v0, 32, v0
	v_cmp_le_i32_e32 vcc_lo, s21, v0
	s_orn2_b32 s0, vcc_lo, exec_lo
	s_branch .LBB7_9
.LBB7_44:
	s_or_b32 exec_lo, exec_lo, s23
.LBB7_45:
	s_or_b32 exec_lo, exec_lo, s20
	v_mbcnt_lo_u32_b32 v0, -1, 0
	s_cmp_lg_u32 s10, 0
	v_xor_b32_e32 v1, 16, v0
	v_xor_b32_e32 v3, 8, v0
	;; [unrolled: 1-line block ×3, first 2 shown]
	v_cmp_gt_i32_e32 vcc_lo, 32, v1
	v_cndmask_b32_e32 v1, v0, v1, vcc_lo
	v_cmp_gt_i32_e32 vcc_lo, 32, v3
	v_lshlrev_b32_e32 v1, 2, v1
	v_cndmask_b32_e32 v3, v0, v3, vcc_lo
	v_cmp_gt_i32_e32 vcc_lo, 32, v5
	ds_bpermute_b32 v2, v1, v8
	ds_bpermute_b32 v1, v1, v9
	v_lshlrev_b32_e32 v3, 2, v3
	v_cndmask_b32_e32 v5, v0, v5, vcc_lo
	v_lshlrev_b32_e32 v5, 2, v5
	s_waitcnt lgkmcnt(1)
	v_add_f32_e32 v2, v8, v2
	s_waitcnt lgkmcnt(0)
	v_add_f32_e32 v1, v9, v1
	ds_bpermute_b32 v4, v3, v2
	ds_bpermute_b32 v3, v3, v1
	s_waitcnt lgkmcnt(1)
	v_add_f32_e32 v2, v2, v4
	s_waitcnt lgkmcnt(0)
	v_add_f32_e32 v1, v1, v3
	ds_bpermute_b32 v3, v5, v2
	ds_bpermute_b32 v4, v5, v1
	v_xor_b32_e32 v5, 2, v0
	v_cmp_gt_i32_e32 vcc_lo, 32, v5
	v_cndmask_b32_e32 v5, v0, v5, vcc_lo
	v_lshlrev_b32_e32 v5, 2, v5
	s_waitcnt lgkmcnt(1)
	v_add_f32_e32 v2, v2, v3
	s_waitcnt lgkmcnt(0)
	v_add_f32_e32 v1, v1, v4
	ds_bpermute_b32 v3, v5, v2
	ds_bpermute_b32 v4, v5, v1
	v_xor_b32_e32 v5, 1, v0
	v_cmp_gt_i32_e32 vcc_lo, 32, v5
	v_cndmask_b32_e32 v0, v0, v5, vcc_lo
	v_lshlrev_b32_e32 v0, 2, v0
	s_waitcnt lgkmcnt(1)
	v_add_f32_e32 v2, v2, v3
	s_waitcnt lgkmcnt(0)
	v_add_f32_e32 v1, v1, v4
	ds_bpermute_b32 v3, v0, v2
	ds_bpermute_b32 v4, v0, v1
	s_waitcnt lgkmcnt(1)
	v_add_f32_e32 v0, v2, v3
	s_waitcnt lgkmcnt(0)
	v_add_f32_e32 v1, v1, v4
	s_cbranch_scc1 .LBB7_47
; %bb.46:
	s_lshl_b32 s0, s11, 3
	s_waitcnt_vscnt null, 0x0
	buffer_gl0_inv
	v_mov_b32_e32 v2, s0
	ds_read_b64 v[2:3], v2
	s_waitcnt lgkmcnt(0)
	v_mul_f32_e64 v4, v3, -v1
	v_mul_f32_e32 v3, v0, v3
	v_fmac_f32_e32 v4, v0, v2
	v_fmac_f32_e32 v3, v1, v2
	v_mov_b32_e32 v0, v4
	v_mov_b32_e32 v1, v3
.LBB7_47:
	s_mov_b32 s0, exec_lo
	v_cmpx_eq_u32_e32 31, v7
	s_cbranch_execz .LBB7_49
; %bb.48:
	s_lshl_b64 s[0:1], s[16:17], 3
	v_mov_b32_e32 v2, 0
	s_add_u32 s0, s12, s0
	v_mov_b32_e32 v3, 1
	s_addc_u32 s1, s13, s1
	s_add_u32 s2, s14, s2
	s_addc_u32 s3, s15, s3
	global_store_dwordx2 v2, v[0:1], s[0:1] glc slc
	s_waitcnt_vscnt null, 0x0
	global_store_dword v2, v3, s[2:3]
.LBB7_49:
	s_endpgm
	.section	.rodata,"a",@progbits
	.p2align	6, 0x0
	.amdhsa_kernel _ZN9rocsparseL12csrsv_kernelILj1024ELj32ELb0Eii21rocsparse_complex_numIfEEEvT3_NS_24const_host_device_scalarIT4_EEPKT2_PKS3_PKS5_SD_lPS5_PiSB_iPS3_21rocsparse_index_base_20rocsparse_fill_mode_20rocsparse_diag_type_b
		.amdhsa_group_segment_fixed_size 256
		.amdhsa_private_segment_fixed_size 0
		.amdhsa_kernarg_size 112
		.amdhsa_user_sgpr_count 6
		.amdhsa_user_sgpr_private_segment_buffer 1
		.amdhsa_user_sgpr_dispatch_ptr 0
		.amdhsa_user_sgpr_queue_ptr 0
		.amdhsa_user_sgpr_kernarg_segment_ptr 1
		.amdhsa_user_sgpr_dispatch_id 0
		.amdhsa_user_sgpr_flat_scratch_init 0
		.amdhsa_user_sgpr_private_segment_size 0
		.amdhsa_wavefront_size32 1
		.amdhsa_uses_dynamic_stack 0
		.amdhsa_system_sgpr_private_segment_wavefront_offset 0
		.amdhsa_system_sgpr_workgroup_id_x 1
		.amdhsa_system_sgpr_workgroup_id_y 0
		.amdhsa_system_sgpr_workgroup_id_z 0
		.amdhsa_system_sgpr_workgroup_info 0
		.amdhsa_system_vgpr_workitem_id 0
		.amdhsa_next_free_vgpr 14
		.amdhsa_next_free_sgpr 29
		.amdhsa_reserve_vcc 1
		.amdhsa_reserve_flat_scratch 0
		.amdhsa_float_round_mode_32 0
		.amdhsa_float_round_mode_16_64 0
		.amdhsa_float_denorm_mode_32 3
		.amdhsa_float_denorm_mode_16_64 3
		.amdhsa_dx10_clamp 1
		.amdhsa_ieee_mode 1
		.amdhsa_fp16_overflow 0
		.amdhsa_workgroup_processor_mode 1
		.amdhsa_memory_ordered 1
		.amdhsa_forward_progress 1
		.amdhsa_shared_vgpr_count 0
		.amdhsa_exception_fp_ieee_invalid_op 0
		.amdhsa_exception_fp_denorm_src 0
		.amdhsa_exception_fp_ieee_div_zero 0
		.amdhsa_exception_fp_ieee_overflow 0
		.amdhsa_exception_fp_ieee_underflow 0
		.amdhsa_exception_fp_ieee_inexact 0
		.amdhsa_exception_int_div_zero 0
	.end_amdhsa_kernel
	.section	.text._ZN9rocsparseL12csrsv_kernelILj1024ELj32ELb0Eii21rocsparse_complex_numIfEEEvT3_NS_24const_host_device_scalarIT4_EEPKT2_PKS3_PKS5_SD_lPS5_PiSB_iPS3_21rocsparse_index_base_20rocsparse_fill_mode_20rocsparse_diag_type_b,"axG",@progbits,_ZN9rocsparseL12csrsv_kernelILj1024ELj32ELb0Eii21rocsparse_complex_numIfEEEvT3_NS_24const_host_device_scalarIT4_EEPKT2_PKS3_PKS5_SD_lPS5_PiSB_iPS3_21rocsparse_index_base_20rocsparse_fill_mode_20rocsparse_diag_type_b,comdat
.Lfunc_end7:
	.size	_ZN9rocsparseL12csrsv_kernelILj1024ELj32ELb0Eii21rocsparse_complex_numIfEEEvT3_NS_24const_host_device_scalarIT4_EEPKT2_PKS3_PKS5_SD_lPS5_PiSB_iPS3_21rocsparse_index_base_20rocsparse_fill_mode_20rocsparse_diag_type_b, .Lfunc_end7-_ZN9rocsparseL12csrsv_kernelILj1024ELj32ELb0Eii21rocsparse_complex_numIfEEEvT3_NS_24const_host_device_scalarIT4_EEPKT2_PKS3_PKS5_SD_lPS5_PiSB_iPS3_21rocsparse_index_base_20rocsparse_fill_mode_20rocsparse_diag_type_b
                                        ; -- End function
	.set _ZN9rocsparseL12csrsv_kernelILj1024ELj32ELb0Eii21rocsparse_complex_numIfEEEvT3_NS_24const_host_device_scalarIT4_EEPKT2_PKS3_PKS5_SD_lPS5_PiSB_iPS3_21rocsparse_index_base_20rocsparse_fill_mode_20rocsparse_diag_type_b.num_vgpr, 14
	.set _ZN9rocsparseL12csrsv_kernelILj1024ELj32ELb0Eii21rocsparse_complex_numIfEEEvT3_NS_24const_host_device_scalarIT4_EEPKT2_PKS3_PKS5_SD_lPS5_PiSB_iPS3_21rocsparse_index_base_20rocsparse_fill_mode_20rocsparse_diag_type_b.num_agpr, 0
	.set _ZN9rocsparseL12csrsv_kernelILj1024ELj32ELb0Eii21rocsparse_complex_numIfEEEvT3_NS_24const_host_device_scalarIT4_EEPKT2_PKS3_PKS5_SD_lPS5_PiSB_iPS3_21rocsparse_index_base_20rocsparse_fill_mode_20rocsparse_diag_type_b.numbered_sgpr, 29
	.set _ZN9rocsparseL12csrsv_kernelILj1024ELj32ELb0Eii21rocsparse_complex_numIfEEEvT3_NS_24const_host_device_scalarIT4_EEPKT2_PKS3_PKS5_SD_lPS5_PiSB_iPS3_21rocsparse_index_base_20rocsparse_fill_mode_20rocsparse_diag_type_b.num_named_barrier, 0
	.set _ZN9rocsparseL12csrsv_kernelILj1024ELj32ELb0Eii21rocsparse_complex_numIfEEEvT3_NS_24const_host_device_scalarIT4_EEPKT2_PKS3_PKS5_SD_lPS5_PiSB_iPS3_21rocsparse_index_base_20rocsparse_fill_mode_20rocsparse_diag_type_b.private_seg_size, 0
	.set _ZN9rocsparseL12csrsv_kernelILj1024ELj32ELb0Eii21rocsparse_complex_numIfEEEvT3_NS_24const_host_device_scalarIT4_EEPKT2_PKS3_PKS5_SD_lPS5_PiSB_iPS3_21rocsparse_index_base_20rocsparse_fill_mode_20rocsparse_diag_type_b.uses_vcc, 1
	.set _ZN9rocsparseL12csrsv_kernelILj1024ELj32ELb0Eii21rocsparse_complex_numIfEEEvT3_NS_24const_host_device_scalarIT4_EEPKT2_PKS3_PKS5_SD_lPS5_PiSB_iPS3_21rocsparse_index_base_20rocsparse_fill_mode_20rocsparse_diag_type_b.uses_flat_scratch, 0
	.set _ZN9rocsparseL12csrsv_kernelILj1024ELj32ELb0Eii21rocsparse_complex_numIfEEEvT3_NS_24const_host_device_scalarIT4_EEPKT2_PKS3_PKS5_SD_lPS5_PiSB_iPS3_21rocsparse_index_base_20rocsparse_fill_mode_20rocsparse_diag_type_b.has_dyn_sized_stack, 0
	.set _ZN9rocsparseL12csrsv_kernelILj1024ELj32ELb0Eii21rocsparse_complex_numIfEEEvT3_NS_24const_host_device_scalarIT4_EEPKT2_PKS3_PKS5_SD_lPS5_PiSB_iPS3_21rocsparse_index_base_20rocsparse_fill_mode_20rocsparse_diag_type_b.has_recursion, 0
	.set _ZN9rocsparseL12csrsv_kernelILj1024ELj32ELb0Eii21rocsparse_complex_numIfEEEvT3_NS_24const_host_device_scalarIT4_EEPKT2_PKS3_PKS5_SD_lPS5_PiSB_iPS3_21rocsparse_index_base_20rocsparse_fill_mode_20rocsparse_diag_type_b.has_indirect_call, 0
	.section	.AMDGPU.csdata,"",@progbits
; Kernel info:
; codeLenInByte = 1680
; TotalNumSgprs: 31
; NumVgprs: 14
; ScratchSize: 0
; MemoryBound: 0
; FloatMode: 240
; IeeeMode: 1
; LDSByteSize: 256 bytes/workgroup (compile time only)
; SGPRBlocks: 0
; VGPRBlocks: 1
; NumSGPRsForWavesPerEU: 31
; NumVGPRsForWavesPerEU: 14
; Occupancy: 16
; WaveLimiterHint : 1
; COMPUTE_PGM_RSRC2:SCRATCH_EN: 0
; COMPUTE_PGM_RSRC2:USER_SGPR: 6
; COMPUTE_PGM_RSRC2:TRAP_HANDLER: 0
; COMPUTE_PGM_RSRC2:TGID_X_EN: 1
; COMPUTE_PGM_RSRC2:TGID_Y_EN: 0
; COMPUTE_PGM_RSRC2:TGID_Z_EN: 0
; COMPUTE_PGM_RSRC2:TIDIG_COMP_CNT: 0
	.section	.text._ZN9rocsparseL12csrsv_kernelILj1024ELj64ELb0Eii21rocsparse_complex_numIfEEEvT3_NS_24const_host_device_scalarIT4_EEPKT2_PKS3_PKS5_SD_lPS5_PiSB_iPS3_21rocsparse_index_base_20rocsparse_fill_mode_20rocsparse_diag_type_b,"axG",@progbits,_ZN9rocsparseL12csrsv_kernelILj1024ELj64ELb0Eii21rocsparse_complex_numIfEEEvT3_NS_24const_host_device_scalarIT4_EEPKT2_PKS3_PKS5_SD_lPS5_PiSB_iPS3_21rocsparse_index_base_20rocsparse_fill_mode_20rocsparse_diag_type_b,comdat
	.globl	_ZN9rocsparseL12csrsv_kernelILj1024ELj64ELb0Eii21rocsparse_complex_numIfEEEvT3_NS_24const_host_device_scalarIT4_EEPKT2_PKS3_PKS5_SD_lPS5_PiSB_iPS3_21rocsparse_index_base_20rocsparse_fill_mode_20rocsparse_diag_type_b ; -- Begin function _ZN9rocsparseL12csrsv_kernelILj1024ELj64ELb0Eii21rocsparse_complex_numIfEEEvT3_NS_24const_host_device_scalarIT4_EEPKT2_PKS3_PKS5_SD_lPS5_PiSB_iPS3_21rocsparse_index_base_20rocsparse_fill_mode_20rocsparse_diag_type_b
	.p2align	8
	.type	_ZN9rocsparseL12csrsv_kernelILj1024ELj64ELb0Eii21rocsparse_complex_numIfEEEvT3_NS_24const_host_device_scalarIT4_EEPKT2_PKS3_PKS5_SD_lPS5_PiSB_iPS3_21rocsparse_index_base_20rocsparse_fill_mode_20rocsparse_diag_type_b,@function
_ZN9rocsparseL12csrsv_kernelILj1024ELj64ELb0Eii21rocsparse_complex_numIfEEEvT3_NS_24const_host_device_scalarIT4_EEPKT2_PKS3_PKS5_SD_lPS5_PiSB_iPS3_21rocsparse_index_base_20rocsparse_fill_mode_20rocsparse_diag_type_b: ; @_ZN9rocsparseL12csrsv_kernelILj1024ELj64ELb0Eii21rocsparse_complex_numIfEEEvT3_NS_24const_host_device_scalarIT4_EEPKT2_PKS3_PKS5_SD_lPS5_PiSB_iPS3_21rocsparse_index_base_20rocsparse_fill_mode_20rocsparse_diag_type_b
; %bb.0:
	s_clause 0x1
	s_load_dwordx4 s[8:11], s[4:5], 0x60
	s_load_dwordx2 s[0:1], s[4:5], 0x8
	s_waitcnt lgkmcnt(0)
	s_bitcmp1_b32 s11, 0
	s_mov_b32 s18, s0
	s_cselect_b32 s3, -1, 0
	s_xor_b32 s2, s3, -1
	s_and_b32 vcc_lo, exec_lo, s3
	s_cbranch_vccnz .LBB8_2
; %bb.1:
	s_load_dword s18, s[0:1], 0x0
.LBB8_2:
	s_andn2_b32 vcc_lo, exec_lo, s2
	s_cbranch_vccnz .LBB8_4
; %bb.3:
	s_load_dword s1, s[0:1], 0x4
.LBB8_4:
	s_load_dword s2, s[4:5], 0x0
	v_readfirstlane_b32 s0, v0
	s_lshr_b32 s11, s0, 6
	s_lshl_b32 s0, s6, 4
	s_add_i32 s0, s11, s0
	s_waitcnt lgkmcnt(0)
	s_cmp_ge_i32 s0, s2
	s_cbranch_scc1 .LBB8_49
; %bb.5:
	s_clause 0x2
	s_load_dword s6, s[4:5], 0x50
	s_load_dwordx2 s[2:3], s[4:5], 0x48
	s_load_dwordx4 s[12:15], s[4:5], 0x38
	v_and_b32_e32 v7, 63, v0
	v_mov_b32_e32 v8, 0
	v_mov_b32_e32 v9, 0
	s_waitcnt lgkmcnt(0)
	s_add_i32 s6, s0, s6
	s_mov_b32 s0, exec_lo
	s_ashr_i32 s7, s6, 31
	s_lshl_b64 s[6:7], s[6:7], 2
	s_add_u32 s2, s2, s6
	s_addc_u32 s3, s3, s7
	s_load_dword s16, s[2:3], 0x0
	s_load_dwordx2 s[6:7], s[4:5], 0x10
	s_waitcnt lgkmcnt(0)
	s_ashr_i32 s17, s16, 31
	s_lshl_b64 s[2:3], s[16:17], 2
	s_add_u32 s6, s6, s2
	s_addc_u32 s7, s7, s3
	s_load_dwordx2 s[6:7], s[6:7], 0x0
	v_cmpx_eq_u32_e32 0, v7
	s_cbranch_execz .LBB8_7
; %bb.6:
	s_load_dwordx4 s[20:23], s[4:5], 0x28
	s_waitcnt lgkmcnt(0)
	s_mul_i32 s19, s22, s17
	s_mul_hi_u32 s24, s22, s16
	s_mul_i32 s23, s23, s16
	s_add_i32 s19, s24, s19
	s_mul_i32 s22, s22, s16
	s_add_i32 s23, s19, s23
	s_lshl_b64 s[22:23], s[22:23], 3
	s_add_u32 s20, s20, s22
	s_addc_u32 s21, s21, s23
	s_load_dwordx2 s[20:21], s[20:21], 0x0
	s_waitcnt lgkmcnt(0)
	v_mul_f32_e64 v8, s21, -s1
	v_mul_f32_e64 v9, s21, s18
	v_fmac_f32_e64 v8, s18, s20
	v_fmac_f32_e64 v9, s1, s20
.LBB8_7:
	s_or_b32 exec_lo, exec_lo, s0
	v_subrev_nc_u32_e32 v0, s8, v7
	s_waitcnt lgkmcnt(0)
	s_sub_i32 s21, s7, s8
	s_mov_b32 s20, exec_lo
	v_add_nc_u32_e32 v0, s6, v0
	v_cmpx_gt_i32_e64 s21, v0
	s_cbranch_execz .LBB8_45
; %bb.8:
	s_clause 0x1
	s_load_dwordx2 s[18:19], s[4:5], 0x58
	s_load_dwordx4 s[4:7], s[4:5], 0x18
	v_mov_b32_e32 v10, 0
	s_cmp_eq_u32 s10, 0
	s_mov_b32 s23, 0
	s_cselect_b32 s22, -1, 0
	s_add_i32 s24, s16, s8
	s_lshl_b32 s25, s11, 3
	s_branch .LBB8_10
.LBB8_9:                                ;   in Loop: Header=BB8_10 Depth=1
	s_or_b32 exec_lo, exec_lo, s26
	s_and_b32 s0, exec_lo, s0
	s_or_b32 s23, s0, s23
	s_andn2_b32 exec_lo, exec_lo, s23
	s_cbranch_execz .LBB8_44
.LBB8_10:                               ; =>This Loop Header: Depth=1
                                        ;     Child Loop BB8_34 Depth 2
	v_ashrrev_i32_e32 v1, 31, v0
	v_lshlrev_b64 v[2:3], 2, v[0:1]
	v_lshlrev_b64 v[4:5], 3, v[0:1]
	s_waitcnt lgkmcnt(0)
	v_add_co_u32 v1, vcc_lo, s4, v2
	v_add_co_ci_u32_e64 v2, null, s5, v3, vcc_lo
	v_add_co_u32 v3, vcc_lo, s6, v4
	v_add_co_ci_u32_e64 v4, null, s7, v5, vcc_lo
	global_load_dword v5, v[1:2], off slc
	global_load_dwordx2 v[1:2], v[3:4], off slc
	s_waitcnt vmcnt(1)
	v_subrev_nc_u32_e32 v3, s8, v5
	s_waitcnt vmcnt(0)
	v_cmp_eq_f32_e64 s0, 0, v1
	v_cmp_eq_f32_e64 s1, 0, v2
	v_cmp_eq_u32_e32 vcc_lo, s16, v3
	s_and_b32 s1, s0, s1
	v_cmp_ne_u32_e64 s0, s16, v3
	s_and_b32 s1, s1, vcc_lo
	s_and_b32 s1, s22, s1
	s_and_saveexec_b32 s26, s1
	s_cbranch_execz .LBB8_14
; %bb.11:                               ;   in Loop: Header=BB8_10 Depth=1
	v_mbcnt_lo_u32_b32 v1, exec_lo, 0
	s_mov_b32 s27, exec_lo
	v_cmpx_eq_u32_e32 0, v1
	s_cbranch_execz .LBB8_13
; %bb.12:                               ;   in Loop: Header=BB8_10 Depth=1
	v_mov_b32_e32 v1, s24
	global_atomic_smin v10, v1, s[18:19]
.LBB8_13:                               ;   in Loop: Header=BB8_10 Depth=1
	s_or_b32 exec_lo, exec_lo, s27
	v_mov_b32_e32 v2, 0
	v_mov_b32_e32 v1, 1.0
.LBB8_14:                               ;   in Loop: Header=BB8_10 Depth=1
	s_or_b32 exec_lo, exec_lo, s26
	s_mov_b32 s1, -1
	s_mov_b32 s26, 0
	s_cmp_lt_i32 s9, 1
	s_mov_b32 s27, 0
	s_cbranch_scc1 .LBB8_24
; %bb.15:                               ;   in Loop: Header=BB8_10 Depth=1
	s_cmp_eq_u32 s9, 1
	s_mov_b32 s27, -1
	s_cbranch_scc0 .LBB8_23
; %bb.16:                               ;   in Loop: Header=BB8_10 Depth=1
	s_mov_b32 s27, 0
	s_mov_b32 s28, exec_lo
	v_cmpx_le_i32_e64 s16, v3
	s_cbranch_execz .LBB8_22
; %bb.17:                               ;   in Loop: Header=BB8_10 Depth=1
	s_mov_b32 s27, -1
	s_and_saveexec_b32 s1, vcc_lo
	s_xor_b32 s1, exec_lo, s1
	s_cbranch_execz .LBB8_21
; %bb.18:                               ;   in Loop: Header=BB8_10 Depth=1
	s_andn2_b32 vcc_lo, exec_lo, s22
	s_cbranch_vccnz .LBB8_20
; %bb.19:                               ;   in Loop: Header=BB8_10 Depth=1
	v_mul_f32_e32 v4, v2, v2
	v_fmac_f32_e32 v4, v1, v1
	v_div_scale_f32 v5, null, v4, v4, 1.0
	v_div_scale_f32 v12, vcc_lo, 1.0, v4, 1.0
	v_rcp_f32_e32 v6, v5
	v_fma_f32 v11, -v5, v6, 1.0
	v_fmac_f32_e32 v6, v11, v6
	v_mul_f32_e32 v11, v12, v6
	v_fma_f32 v13, -v5, v11, v12
	v_fmac_f32_e32 v11, v13, v6
	v_fma_f32 v5, -v5, v11, v12
	v_div_fmas_f32 v5, v5, v6, v11
	v_fma_f32 v6, 0, v2, v1
	v_fma_f32 v11, v1, 0, -v2
	v_div_fixup_f32 v5, v5, v4, 1.0
	v_mul_f32_e32 v4, v6, v5
	v_mul_f32_e32 v5, v11, v5
	v_mov_b32_e32 v6, s25
	ds_write_b64 v6, v[4:5]
.LBB8_20:                               ;   in Loop: Header=BB8_10 Depth=1
	s_xor_b32 s27, exec_lo, -1
.LBB8_21:                               ;   in Loop: Header=BB8_10 Depth=1
	s_or_b32 exec_lo, exec_lo, s1
	s_and_b32 s27, s27, exec_lo
.LBB8_22:                               ;   in Loop: Header=BB8_10 Depth=1
	s_or_b32 exec_lo, exec_lo, s28
.LBB8_23:                               ;   in Loop: Header=BB8_10 Depth=1
	s_mov_b32 s1, 0
.LBB8_24:                               ;   in Loop: Header=BB8_10 Depth=1
	s_and_b32 vcc_lo, exec_lo, s1
	s_mov_b32 s1, 4
	s_cbranch_vccz .LBB8_31
; %bb.25:                               ;   in Loop: Header=BB8_10 Depth=1
	s_cmp_eq_u32 s9, 0
	s_cbranch_scc1 .LBB8_27
; %bb.26:                               ;   in Loop: Header=BB8_10 Depth=1
	s_mov_b32 s27, -1
	s_branch .LBB8_30
.LBB8_27:                               ;   in Loop: Header=BB8_10 Depth=1
	s_mov_b32 s27, 0
	s_mov_b32 s1, exec_lo
	v_cmpx_ge_i32_e64 s16, v3
; %bb.28:                               ;   in Loop: Header=BB8_10 Depth=1
	s_mov_b32 s26, exec_lo
	s_and_b32 s27, s0, exec_lo
; %bb.29:                               ;   in Loop: Header=BB8_10 Depth=1
	s_or_b32 exec_lo, exec_lo, s1
.LBB8_30:                               ;   in Loop: Header=BB8_10 Depth=1
	s_mov_b32 s1, 2
.LBB8_31:                               ;   in Loop: Header=BB8_10 Depth=1
	v_mov_b32_e32 v4, s1
	v_mov_b32_e32 v6, v9
	;; [unrolled: 1-line block ×3, first 2 shown]
	s_and_saveexec_b32 s0, s27
	s_cbranch_execz .LBB8_36
; %bb.32:                               ;   in Loop: Header=BB8_10 Depth=1
	v_ashrrev_i32_e32 v4, 31, v3
	s_mov_b32 s1, exec_lo
	v_lshlrev_b64 v[5:6], 2, v[3:4]
	v_add_co_u32 v5, vcc_lo, s14, v5
	v_add_co_ci_u32_e64 v6, null, s15, v6, vcc_lo
	global_load_dword v11, v[5:6], off glc dlc
	s_waitcnt vmcnt(0)
	v_cmpx_eq_u32_e32 0, v11
	s_cbranch_execz .LBB8_35
; %bb.33:                               ;   in Loop: Header=BB8_10 Depth=1
	s_mov_b32 s27, 0
.LBB8_34:                               ;   Parent Loop BB8_10 Depth=1
                                        ; =>  This Inner Loop Header: Depth=2
	global_load_dword v11, v[5:6], off glc dlc
	s_waitcnt vmcnt(0)
	v_cmp_ne_u32_e32 vcc_lo, 0, v11
	s_or_b32 s27, vcc_lo, s27
	s_andn2_b32 exec_lo, exec_lo, s27
	s_cbranch_execnz .LBB8_34
.LBB8_35:                               ;   in Loop: Header=BB8_10 Depth=1
	s_or_b32 exec_lo, exec_lo, s1
	v_lshlrev_b64 v[3:4], 3, v[3:4]
	s_waitcnt lgkmcnt(0)
	s_waitcnt_vscnt null, 0x0
	buffer_gl1_inv
	buffer_gl0_inv
	s_andn2_b32 s26, s26, exec_lo
	v_add_co_u32 v3, vcc_lo, s12, v3
	v_add_co_ci_u32_e64 v4, null, s13, v4, vcc_lo
	global_load_dwordx2 v[3:4], v[3:4], off
	s_waitcnt vmcnt(0)
	v_fma_f32 v5, -v1, v3, v8
	v_fma_f32 v3, -v2, v3, v9
	v_fmac_f32_e32 v5, v2, v4
	v_fma_f32 v6, -v1, v4, v3
	v_mov_b32_e32 v4, 0
.LBB8_36:                               ;   in Loop: Header=BB8_10 Depth=1
	s_or_b32 exec_lo, exec_lo, s0
	s_and_saveexec_b32 s0, s26
	s_cbranch_execz .LBB8_40
; %bb.37:                               ;   in Loop: Header=BB8_10 Depth=1
	s_andn2_b32 vcc_lo, exec_lo, s22
	s_cbranch_vccnz .LBB8_39
; %bb.38:                               ;   in Loop: Header=BB8_10 Depth=1
	v_mul_f32_e32 v3, v2, v2
	v_fmac_f32_e32 v3, v1, v1
	v_div_scale_f32 v4, null, v3, v3, 1.0
	v_div_scale_f32 v11, vcc_lo, 1.0, v3, 1.0
	v_rcp_f32_e32 v5, v4
	v_fma_f32 v6, -v4, v5, 1.0
	v_fmac_f32_e32 v5, v6, v5
	v_mul_f32_e32 v6, v11, v5
	v_fma_f32 v12, -v4, v6, v11
	v_fmac_f32_e32 v6, v12, v5
	v_fma_f32 v4, -v4, v6, v11
	v_div_fmas_f32 v4, v4, v5, v6
	v_fma_f32 v5, 0, v2, v1
	v_fma_f32 v2, v1, 0, -v2
	v_div_fixup_f32 v3, v4, v3, 1.0
	v_mul_f32_e32 v1, v5, v3
	v_mul_f32_e32 v2, v2, v3
	v_mov_b32_e32 v3, s25
	ds_write_b64 v3, v[1:2]
.LBB8_39:                               ;   in Loop: Header=BB8_10 Depth=1
	v_mov_b32_e32 v4, 2
	v_mov_b32_e32 v5, v8
	;; [unrolled: 1-line block ×3, first 2 shown]
.LBB8_40:                               ;   in Loop: Header=BB8_10 Depth=1
	s_or_b32 exec_lo, exec_lo, s0
	v_mov_b32_e32 v9, v6
	v_mov_b32_e32 v8, v5
	s_mov_b32 s0, -1
	s_mov_b32 s1, -1
	s_mov_b32 s26, exec_lo
	v_cmpx_gt_i32_e32 4, v4
; %bb.41:                               ;   in Loop: Header=BB8_10 Depth=1
	v_cmp_eq_u32_e32 vcc_lo, 0, v4
	s_orn2_b32 s1, vcc_lo, exec_lo
; %bb.42:                               ;   in Loop: Header=BB8_10 Depth=1
	s_or_b32 exec_lo, exec_lo, s26
	s_and_saveexec_b32 s26, s1
	s_cbranch_execz .LBB8_9
; %bb.43:                               ;   in Loop: Header=BB8_10 Depth=1
	v_add_nc_u32_e32 v0, 64, v0
	v_cmp_le_i32_e32 vcc_lo, s21, v0
	s_orn2_b32 s0, vcc_lo, exec_lo
	s_branch .LBB8_9
.LBB8_44:
	s_or_b32 exec_lo, exec_lo, s23
.LBB8_45:
	s_or_b32 exec_lo, exec_lo, s20
	v_mbcnt_lo_u32_b32 v0, -1, 0
	s_cmp_lg_u32 s10, 0
	v_or_b32_e32 v1, 32, v0
	v_xor_b32_e32 v3, 16, v0
	v_xor_b32_e32 v5, 8, v0
	v_cmp_gt_i32_e32 vcc_lo, 32, v1
	v_cndmask_b32_e32 v1, v0, v1, vcc_lo
	v_cmp_gt_i32_e32 vcc_lo, 32, v3
	v_lshlrev_b32_e32 v1, 2, v1
	v_cndmask_b32_e32 v3, v0, v3, vcc_lo
	v_cmp_gt_i32_e32 vcc_lo, 32, v5
	ds_bpermute_b32 v2, v1, v8
	ds_bpermute_b32 v1, v1, v9
	v_lshlrev_b32_e32 v3, 2, v3
	v_cndmask_b32_e32 v5, v0, v5, vcc_lo
	v_lshlrev_b32_e32 v5, 2, v5
	s_waitcnt lgkmcnt(1)
	v_add_f32_e32 v2, v8, v2
	s_waitcnt lgkmcnt(0)
	v_add_f32_e32 v1, v9, v1
	ds_bpermute_b32 v4, v3, v2
	ds_bpermute_b32 v3, v3, v1
	s_waitcnt lgkmcnt(1)
	v_add_f32_e32 v2, v2, v4
	s_waitcnt lgkmcnt(0)
	v_add_f32_e32 v1, v1, v3
	ds_bpermute_b32 v3, v5, v2
	ds_bpermute_b32 v4, v5, v1
	v_xor_b32_e32 v5, 4, v0
	v_cmp_gt_i32_e32 vcc_lo, 32, v5
	v_cndmask_b32_e32 v5, v0, v5, vcc_lo
	v_lshlrev_b32_e32 v5, 2, v5
	s_waitcnt lgkmcnt(1)
	v_add_f32_e32 v2, v2, v3
	s_waitcnt lgkmcnt(0)
	v_add_f32_e32 v1, v1, v4
	ds_bpermute_b32 v3, v5, v2
	ds_bpermute_b32 v4, v5, v1
	v_xor_b32_e32 v5, 2, v0
	v_cmp_gt_i32_e32 vcc_lo, 32, v5
	v_cndmask_b32_e32 v5, v0, v5, vcc_lo
	v_lshlrev_b32_e32 v5, 2, v5
	;; [unrolled: 10-line block ×3, first 2 shown]
	s_waitcnt lgkmcnt(1)
	v_add_f32_e32 v2, v2, v3
	s_waitcnt lgkmcnt(0)
	v_add_f32_e32 v1, v1, v4
	ds_bpermute_b32 v3, v0, v2
	ds_bpermute_b32 v4, v0, v1
	s_waitcnt lgkmcnt(1)
	v_add_f32_e32 v0, v2, v3
	s_waitcnt lgkmcnt(0)
	v_add_f32_e32 v1, v1, v4
	s_cbranch_scc1 .LBB8_47
; %bb.46:
	s_lshl_b32 s0, s11, 3
	s_waitcnt_vscnt null, 0x0
	buffer_gl0_inv
	v_mov_b32_e32 v2, s0
	ds_read_b64 v[2:3], v2
	s_waitcnt lgkmcnt(0)
	v_mul_f32_e64 v4, v3, -v1
	v_mul_f32_e32 v3, v0, v3
	v_fmac_f32_e32 v4, v0, v2
	v_fmac_f32_e32 v3, v1, v2
	v_mov_b32_e32 v0, v4
	v_mov_b32_e32 v1, v3
.LBB8_47:
	s_mov_b32 s0, exec_lo
	v_cmpx_eq_u32_e32 63, v7
	s_cbranch_execz .LBB8_49
; %bb.48:
	s_lshl_b64 s[0:1], s[16:17], 3
	v_mov_b32_e32 v2, 0
	s_add_u32 s0, s12, s0
	v_mov_b32_e32 v3, 1
	s_addc_u32 s1, s13, s1
	s_add_u32 s2, s14, s2
	s_addc_u32 s3, s15, s3
	global_store_dwordx2 v2, v[0:1], s[0:1] glc slc
	s_waitcnt_vscnt null, 0x0
	global_store_dword v2, v3, s[2:3]
.LBB8_49:
	s_endpgm
	.section	.rodata,"a",@progbits
	.p2align	6, 0x0
	.amdhsa_kernel _ZN9rocsparseL12csrsv_kernelILj1024ELj64ELb0Eii21rocsparse_complex_numIfEEEvT3_NS_24const_host_device_scalarIT4_EEPKT2_PKS3_PKS5_SD_lPS5_PiSB_iPS3_21rocsparse_index_base_20rocsparse_fill_mode_20rocsparse_diag_type_b
		.amdhsa_group_segment_fixed_size 128
		.amdhsa_private_segment_fixed_size 0
		.amdhsa_kernarg_size 112
		.amdhsa_user_sgpr_count 6
		.amdhsa_user_sgpr_private_segment_buffer 1
		.amdhsa_user_sgpr_dispatch_ptr 0
		.amdhsa_user_sgpr_queue_ptr 0
		.amdhsa_user_sgpr_kernarg_segment_ptr 1
		.amdhsa_user_sgpr_dispatch_id 0
		.amdhsa_user_sgpr_flat_scratch_init 0
		.amdhsa_user_sgpr_private_segment_size 0
		.amdhsa_wavefront_size32 1
		.amdhsa_uses_dynamic_stack 0
		.amdhsa_system_sgpr_private_segment_wavefront_offset 0
		.amdhsa_system_sgpr_workgroup_id_x 1
		.amdhsa_system_sgpr_workgroup_id_y 0
		.amdhsa_system_sgpr_workgroup_id_z 0
		.amdhsa_system_sgpr_workgroup_info 0
		.amdhsa_system_vgpr_workitem_id 0
		.amdhsa_next_free_vgpr 14
		.amdhsa_next_free_sgpr 29
		.amdhsa_reserve_vcc 1
		.amdhsa_reserve_flat_scratch 0
		.amdhsa_float_round_mode_32 0
		.amdhsa_float_round_mode_16_64 0
		.amdhsa_float_denorm_mode_32 3
		.amdhsa_float_denorm_mode_16_64 3
		.amdhsa_dx10_clamp 1
		.amdhsa_ieee_mode 1
		.amdhsa_fp16_overflow 0
		.amdhsa_workgroup_processor_mode 1
		.amdhsa_memory_ordered 1
		.amdhsa_forward_progress 1
		.amdhsa_shared_vgpr_count 0
		.amdhsa_exception_fp_ieee_invalid_op 0
		.amdhsa_exception_fp_denorm_src 0
		.amdhsa_exception_fp_ieee_div_zero 0
		.amdhsa_exception_fp_ieee_overflow 0
		.amdhsa_exception_fp_ieee_underflow 0
		.amdhsa_exception_fp_ieee_inexact 0
		.amdhsa_exception_int_div_zero 0
	.end_amdhsa_kernel
	.section	.text._ZN9rocsparseL12csrsv_kernelILj1024ELj64ELb0Eii21rocsparse_complex_numIfEEEvT3_NS_24const_host_device_scalarIT4_EEPKT2_PKS3_PKS5_SD_lPS5_PiSB_iPS3_21rocsparse_index_base_20rocsparse_fill_mode_20rocsparse_diag_type_b,"axG",@progbits,_ZN9rocsparseL12csrsv_kernelILj1024ELj64ELb0Eii21rocsparse_complex_numIfEEEvT3_NS_24const_host_device_scalarIT4_EEPKT2_PKS3_PKS5_SD_lPS5_PiSB_iPS3_21rocsparse_index_base_20rocsparse_fill_mode_20rocsparse_diag_type_b,comdat
.Lfunc_end8:
	.size	_ZN9rocsparseL12csrsv_kernelILj1024ELj64ELb0Eii21rocsparse_complex_numIfEEEvT3_NS_24const_host_device_scalarIT4_EEPKT2_PKS3_PKS5_SD_lPS5_PiSB_iPS3_21rocsparse_index_base_20rocsparse_fill_mode_20rocsparse_diag_type_b, .Lfunc_end8-_ZN9rocsparseL12csrsv_kernelILj1024ELj64ELb0Eii21rocsparse_complex_numIfEEEvT3_NS_24const_host_device_scalarIT4_EEPKT2_PKS3_PKS5_SD_lPS5_PiSB_iPS3_21rocsparse_index_base_20rocsparse_fill_mode_20rocsparse_diag_type_b
                                        ; -- End function
	.set _ZN9rocsparseL12csrsv_kernelILj1024ELj64ELb0Eii21rocsparse_complex_numIfEEEvT3_NS_24const_host_device_scalarIT4_EEPKT2_PKS3_PKS5_SD_lPS5_PiSB_iPS3_21rocsparse_index_base_20rocsparse_fill_mode_20rocsparse_diag_type_b.num_vgpr, 14
	.set _ZN9rocsparseL12csrsv_kernelILj1024ELj64ELb0Eii21rocsparse_complex_numIfEEEvT3_NS_24const_host_device_scalarIT4_EEPKT2_PKS3_PKS5_SD_lPS5_PiSB_iPS3_21rocsparse_index_base_20rocsparse_fill_mode_20rocsparse_diag_type_b.num_agpr, 0
	.set _ZN9rocsparseL12csrsv_kernelILj1024ELj64ELb0Eii21rocsparse_complex_numIfEEEvT3_NS_24const_host_device_scalarIT4_EEPKT2_PKS3_PKS5_SD_lPS5_PiSB_iPS3_21rocsparse_index_base_20rocsparse_fill_mode_20rocsparse_diag_type_b.numbered_sgpr, 29
	.set _ZN9rocsparseL12csrsv_kernelILj1024ELj64ELb0Eii21rocsparse_complex_numIfEEEvT3_NS_24const_host_device_scalarIT4_EEPKT2_PKS3_PKS5_SD_lPS5_PiSB_iPS3_21rocsparse_index_base_20rocsparse_fill_mode_20rocsparse_diag_type_b.num_named_barrier, 0
	.set _ZN9rocsparseL12csrsv_kernelILj1024ELj64ELb0Eii21rocsparse_complex_numIfEEEvT3_NS_24const_host_device_scalarIT4_EEPKT2_PKS3_PKS5_SD_lPS5_PiSB_iPS3_21rocsparse_index_base_20rocsparse_fill_mode_20rocsparse_diag_type_b.private_seg_size, 0
	.set _ZN9rocsparseL12csrsv_kernelILj1024ELj64ELb0Eii21rocsparse_complex_numIfEEEvT3_NS_24const_host_device_scalarIT4_EEPKT2_PKS3_PKS5_SD_lPS5_PiSB_iPS3_21rocsparse_index_base_20rocsparse_fill_mode_20rocsparse_diag_type_b.uses_vcc, 1
	.set _ZN9rocsparseL12csrsv_kernelILj1024ELj64ELb0Eii21rocsparse_complex_numIfEEEvT3_NS_24const_host_device_scalarIT4_EEPKT2_PKS3_PKS5_SD_lPS5_PiSB_iPS3_21rocsparse_index_base_20rocsparse_fill_mode_20rocsparse_diag_type_b.uses_flat_scratch, 0
	.set _ZN9rocsparseL12csrsv_kernelILj1024ELj64ELb0Eii21rocsparse_complex_numIfEEEvT3_NS_24const_host_device_scalarIT4_EEPKT2_PKS3_PKS5_SD_lPS5_PiSB_iPS3_21rocsparse_index_base_20rocsparse_fill_mode_20rocsparse_diag_type_b.has_dyn_sized_stack, 0
	.set _ZN9rocsparseL12csrsv_kernelILj1024ELj64ELb0Eii21rocsparse_complex_numIfEEEvT3_NS_24const_host_device_scalarIT4_EEPKT2_PKS3_PKS5_SD_lPS5_PiSB_iPS3_21rocsparse_index_base_20rocsparse_fill_mode_20rocsparse_diag_type_b.has_recursion, 0
	.set _ZN9rocsparseL12csrsv_kernelILj1024ELj64ELb0Eii21rocsparse_complex_numIfEEEvT3_NS_24const_host_device_scalarIT4_EEPKT2_PKS3_PKS5_SD_lPS5_PiSB_iPS3_21rocsparse_index_base_20rocsparse_fill_mode_20rocsparse_diag_type_b.has_indirect_call, 0
	.section	.AMDGPU.csdata,"",@progbits
; Kernel info:
; codeLenInByte = 1728
; TotalNumSgprs: 31
; NumVgprs: 14
; ScratchSize: 0
; MemoryBound: 0
; FloatMode: 240
; IeeeMode: 1
; LDSByteSize: 128 bytes/workgroup (compile time only)
; SGPRBlocks: 0
; VGPRBlocks: 1
; NumSGPRsForWavesPerEU: 31
; NumVGPRsForWavesPerEU: 14
; Occupancy: 16
; WaveLimiterHint : 1
; COMPUTE_PGM_RSRC2:SCRATCH_EN: 0
; COMPUTE_PGM_RSRC2:USER_SGPR: 6
; COMPUTE_PGM_RSRC2:TRAP_HANDLER: 0
; COMPUTE_PGM_RSRC2:TGID_X_EN: 1
; COMPUTE_PGM_RSRC2:TGID_Y_EN: 0
; COMPUTE_PGM_RSRC2:TGID_Z_EN: 0
; COMPUTE_PGM_RSRC2:TIDIG_COMP_CNT: 0
	.section	.text._ZN9rocsparseL12csrsv_kernelILj1024ELj64ELb1Eii21rocsparse_complex_numIdEEEvT3_NS_24const_host_device_scalarIT4_EEPKT2_PKS3_PKS5_SD_lPS5_PiSB_iPS3_21rocsparse_index_base_20rocsparse_fill_mode_20rocsparse_diag_type_b,"axG",@progbits,_ZN9rocsparseL12csrsv_kernelILj1024ELj64ELb1Eii21rocsparse_complex_numIdEEEvT3_NS_24const_host_device_scalarIT4_EEPKT2_PKS3_PKS5_SD_lPS5_PiSB_iPS3_21rocsparse_index_base_20rocsparse_fill_mode_20rocsparse_diag_type_b,comdat
	.globl	_ZN9rocsparseL12csrsv_kernelILj1024ELj64ELb1Eii21rocsparse_complex_numIdEEEvT3_NS_24const_host_device_scalarIT4_EEPKT2_PKS3_PKS5_SD_lPS5_PiSB_iPS3_21rocsparse_index_base_20rocsparse_fill_mode_20rocsparse_diag_type_b ; -- Begin function _ZN9rocsparseL12csrsv_kernelILj1024ELj64ELb1Eii21rocsparse_complex_numIdEEEvT3_NS_24const_host_device_scalarIT4_EEPKT2_PKS3_PKS5_SD_lPS5_PiSB_iPS3_21rocsparse_index_base_20rocsparse_fill_mode_20rocsparse_diag_type_b
	.p2align	8
	.type	_ZN9rocsparseL12csrsv_kernelILj1024ELj64ELb1Eii21rocsparse_complex_numIdEEEvT3_NS_24const_host_device_scalarIT4_EEPKT2_PKS3_PKS5_SD_lPS5_PiSB_iPS3_21rocsparse_index_base_20rocsparse_fill_mode_20rocsparse_diag_type_b,@function
_ZN9rocsparseL12csrsv_kernelILj1024ELj64ELb1Eii21rocsparse_complex_numIdEEEvT3_NS_24const_host_device_scalarIT4_EEPKT2_PKS3_PKS5_SD_lPS5_PiSB_iPS3_21rocsparse_index_base_20rocsparse_fill_mode_20rocsparse_diag_type_b: ; @_ZN9rocsparseL12csrsv_kernelILj1024ELj64ELb1Eii21rocsparse_complex_numIdEEEvT3_NS_24const_host_device_scalarIT4_EEPKT2_PKS3_PKS5_SD_lPS5_PiSB_iPS3_21rocsparse_index_base_20rocsparse_fill_mode_20rocsparse_diag_type_b
; %bb.0:
	s_add_u32 s6, s6, s9
	s_addc_u32 s7, s7, 0
	s_setreg_b32 hwreg(HW_REG_FLAT_SCR_LO), s6
	s_setreg_b32 hwreg(HW_REG_FLAT_SCR_HI), s7
	s_clause 0x1
	s_load_dwordx4 s[12:15], s[4:5], 0x68
	s_load_dwordx4 s[16:19], s[4:5], 0x8
	s_add_u32 s0, s0, s9
	s_addc_u32 s1, s1, 0
	s_mov_b64 s[6:7], src_private_base
	s_waitcnt lgkmcnt(0)
	s_bitcmp1_b32 s15, 0
	v_mov_b32_e32 v3, s17
	s_cselect_b32 s6, -1, 0
	v_mov_b32_e32 v4, s16
	s_and_b32 vcc_lo, s6, exec_lo
	s_cselect_b32 s6, 0, s16
	s_cselect_b32 s7, s7, s17
	v_mov_b32_e32 v1, s6
	v_mov_b32_e32 v2, s7
	buffer_store_dword v3, off, s[0:3], 0 offset:4
	buffer_store_dword v4, off, s[0:3], 0
	v_mov_b32_e32 v8, s18
	v_mov_b32_e32 v9, s19
	flat_load_dwordx2 v[1:2], v[1:2]
	s_cbranch_vccnz .LBB9_2
; %bb.1:
	v_mov_b32_e32 v3, s16
	v_mov_b32_e32 v4, s17
	flat_load_dwordx2 v[8:9], v[3:4] offset:8
.LBB9_2:
	s_load_dword s7, s[4:5], 0x0
	v_readfirstlane_b32 s6, v0
	s_lshr_b32 s15, s6, 6
	s_lshl_b32 s6, s8, 4
	s_add_i32 s6, s15, s6
	s_waitcnt lgkmcnt(0)
	s_cmp_ge_i32 s6, s7
	s_cbranch_scc1 .LBB9_49
; %bb.3:
	s_clause 0x1
	s_load_dword s7, s[4:5], 0x58
	s_load_dwordx2 s[8:9], s[4:5], 0x50
	v_mov_b32_e32 v6, 0
	v_mov_b32_e32 v4, 0
	v_and_b32_e32 v14, 63, v0
	v_mov_b32_e32 v7, 0
	v_mov_b32_e32 v5, 0
	s_mov_b32 s18, exec_lo
	s_waitcnt lgkmcnt(0)
	s_add_i32 s6, s6, s7
	s_ashr_i32 s7, s6, 31
	s_lshl_b64 s[6:7], s[6:7], 2
	s_add_u32 s6, s8, s6
	s_addc_u32 s7, s9, s7
	s_load_dword s20, s[6:7], 0x0
	s_load_dwordx2 s[8:9], s[4:5], 0x18
	s_waitcnt lgkmcnt(0)
	s_ashr_i32 s21, s20, 31
	s_lshl_b64 s[6:7], s[20:21], 2
	s_add_u32 s16, s8, s6
	s_addc_u32 s17, s9, s7
	s_load_dwordx4 s[8:11], s[4:5], 0x40
	s_load_dwordx2 s[16:17], s[16:17], 0x0
	v_cmpx_eq_u32_e32 0, v14
	s_cbranch_execz .LBB9_5
; %bb.4:
	s_load_dwordx4 s[24:27], s[4:5], 0x30
	s_waitcnt lgkmcnt(0)
	s_mul_i32 s19, s26, s21
	s_mul_hi_u32 s22, s26, s20
	s_mul_i32 s23, s27, s20
	s_add_i32 s19, s22, s19
	s_mul_i32 s22, s26, s20
	s_add_i32 s23, s19, s23
	s_lshl_b64 s[22:23], s[22:23], 4
	s_add_u32 s22, s24, s22
	s_addc_u32 s23, s25, s23
	s_load_dwordx4 s[24:27], s[22:23], 0x0
	s_waitcnt vmcnt(0) lgkmcnt(0)
	v_mul_f64 v[3:4], s[26:27], -v[8:9]
	v_mul_f64 v[10:11], v[1:2], s[26:27]
	v_fma_f64 v[6:7], v[1:2], s[24:25], v[3:4]
	v_fma_f64 v[4:5], v[8:9], s[24:25], v[10:11]
.LBB9_5:
	s_or_b32 exec_lo, exec_lo, s18
	v_subrev_nc_u32_e32 v0, s12, v14
	s_waitcnt lgkmcnt(0)
	s_sub_i32 s25, s17, s12
	s_mov_b32 s24, exec_lo
	s_waitcnt vmcnt(0)
	v_add_nc_u32_e32 v8, s16, v0
	v_cmpx_gt_i32_e64 s25, v8
	s_cbranch_execz .LBB9_45
; %bb.6:
	s_clause 0x1
	s_load_dwordx2 s[22:23], s[4:5], 0x60
	s_load_dwordx4 s[16:19], s[4:5], 0x20
	v_mov_b32_e32 v15, 0
	s_cmp_eq_u32 s14, 0
	s_mov_b32 s27, 0
	s_cselect_b32 s26, -1, 0
	s_add_i32 s28, s20, s12
	s_lshl_b32 s29, s15, 4
	s_branch .LBB9_8
.LBB9_7:                                ;   in Loop: Header=BB9_8 Depth=1
	s_or_b32 exec_lo, exec_lo, s30
	s_and_b32 s4, exec_lo, s4
	s_or_b32 s27, s4, s27
	s_andn2_b32 exec_lo, exec_lo, s27
	s_cbranch_execz .LBB9_44
.LBB9_8:                                ; =>This Loop Header: Depth=1
                                        ;     Child Loop BB9_33 Depth 2
                                        ;       Child Loop BB9_34 Depth 3
	v_ashrrev_i32_e32 v9, 31, v8
	v_lshlrev_b64 v[0:1], 4, v[8:9]
	v_lshlrev_b64 v[9:10], 2, v[8:9]
	s_waitcnt lgkmcnt(0)
	v_add_co_u32 v0, vcc_lo, s18, v0
	v_add_co_ci_u32_e64 v1, null, s19, v1, vcc_lo
	v_add_co_u32 v9, vcc_lo, s16, v9
	v_add_co_ci_u32_e64 v10, null, s17, v10, vcc_lo
	global_load_dwordx4 v[0:3], v[0:1], off slc
	global_load_dword v9, v[9:10], off slc
	s_waitcnt vmcnt(1)
	v_cmp_eq_f64_e64 s4, 0, v[0:1]
	v_cmp_eq_f64_e64 s5, 0, v[2:3]
	s_waitcnt vmcnt(0)
	v_subrev_nc_u32_e32 v9, s12, v9
	v_cmp_eq_u32_e32 vcc_lo, s20, v9
	s_and_b32 s5, s4, s5
	v_cmp_ne_u32_e64 s4, s20, v9
	s_and_b32 s5, s5, vcc_lo
	s_and_b32 s5, s26, s5
	s_and_saveexec_b32 s30, s5
	s_cbranch_execz .LBB9_12
; %bb.9:                                ;   in Loop: Header=BB9_8 Depth=1
	v_mbcnt_lo_u32_b32 v0, exec_lo, 0
	s_mov_b32 s31, exec_lo
	v_cmpx_eq_u32_e32 0, v0
	s_cbranch_execz .LBB9_11
; %bb.10:                               ;   in Loop: Header=BB9_8 Depth=1
	v_mov_b32_e32 v0, s28
	global_atomic_smin v15, v0, s[22:23]
.LBB9_11:                               ;   in Loop: Header=BB9_8 Depth=1
	s_or_b32 exec_lo, exec_lo, s31
	v_mov_b32_e32 v2, 0
	v_mov_b32_e32 v0, 0
	;; [unrolled: 1-line block ×4, first 2 shown]
.LBB9_12:                               ;   in Loop: Header=BB9_8 Depth=1
	s_or_b32 exec_lo, exec_lo, s30
	s_mov_b32 s5, -1
	s_mov_b32 s30, 0
	s_cmp_lt_i32 s13, 1
	s_mov_b32 s31, 0
	s_cbranch_scc1 .LBB9_22
; %bb.13:                               ;   in Loop: Header=BB9_8 Depth=1
	s_cmp_eq_u32 s13, 1
	s_mov_b32 s31, -1
	s_cbranch_scc0 .LBB9_21
; %bb.14:                               ;   in Loop: Header=BB9_8 Depth=1
	s_mov_b32 s31, 0
	s_mov_b32 s33, exec_lo
	v_cmpx_le_i32_e64 s20, v9
	s_cbranch_execz .LBB9_20
; %bb.15:                               ;   in Loop: Header=BB9_8 Depth=1
	s_mov_b32 s31, -1
	s_and_saveexec_b32 s5, vcc_lo
	s_xor_b32 s5, exec_lo, s5
	s_cbranch_execz .LBB9_19
; %bb.16:                               ;   in Loop: Header=BB9_8 Depth=1
	s_andn2_b32 vcc_lo, exec_lo, s26
	s_cbranch_vccnz .LBB9_18
; %bb.17:                               ;   in Loop: Header=BB9_8 Depth=1
	v_mul_f64 v[10:11], v[2:3], v[2:3]
	v_fma_f64 v[10:11], v[0:1], v[0:1], v[10:11]
	v_div_scale_f64 v[12:13], null, v[10:11], v[10:11], 1.0
	v_div_scale_f64 v[20:21], vcc_lo, 1.0, v[10:11], 1.0
	v_rcp_f64_e32 v[16:17], v[12:13]
	v_fma_f64 v[18:19], -v[12:13], v[16:17], 1.0
	v_fma_f64 v[16:17], v[16:17], v[18:19], v[16:17]
	v_fma_f64 v[18:19], -v[12:13], v[16:17], 1.0
	v_fma_f64 v[16:17], v[16:17], v[18:19], v[16:17]
	v_mul_f64 v[18:19], v[20:21], v[16:17]
	v_fma_f64 v[12:13], -v[12:13], v[18:19], v[20:21]
	v_div_fmas_f64 v[12:13], v[12:13], v[16:17], v[18:19]
	v_fma_f64 v[16:17], v[2:3], 0, v[0:1]
	v_fma_f64 v[18:19], v[0:1], 0, -v[2:3]
	v_div_fixup_f64 v[12:13], v[12:13], v[10:11], 1.0
	v_mul_f64 v[10:11], v[16:17], v[12:13]
	v_mul_f64 v[12:13], v[18:19], v[12:13]
	v_mov_b32_e32 v16, s29
	ds_write_b128 v16, v[10:13]
.LBB9_18:                               ;   in Loop: Header=BB9_8 Depth=1
	s_xor_b32 s31, exec_lo, -1
.LBB9_19:                               ;   in Loop: Header=BB9_8 Depth=1
	s_or_b32 exec_lo, exec_lo, s5
	s_and_b32 s31, s31, exec_lo
.LBB9_20:                               ;   in Loop: Header=BB9_8 Depth=1
	s_or_b32 exec_lo, exec_lo, s33
.LBB9_21:                               ;   in Loop: Header=BB9_8 Depth=1
	s_mov_b32 s5, 0
.LBB9_22:                               ;   in Loop: Header=BB9_8 Depth=1
	s_and_b32 vcc_lo, exec_lo, s5
	s_mov_b32 s5, 4
	s_cbranch_vccz .LBB9_29
; %bb.23:                               ;   in Loop: Header=BB9_8 Depth=1
	s_cmp_eq_u32 s13, 0
	s_cbranch_scc1 .LBB9_25
; %bb.24:                               ;   in Loop: Header=BB9_8 Depth=1
	s_mov_b32 s31, -1
	s_branch .LBB9_28
.LBB9_25:                               ;   in Loop: Header=BB9_8 Depth=1
	s_mov_b32 s31, 0
	s_mov_b32 s5, exec_lo
	v_cmpx_ge_i32_e64 s20, v9
; %bb.26:                               ;   in Loop: Header=BB9_8 Depth=1
	s_mov_b32 s30, exec_lo
	s_and_b32 s31, s4, exec_lo
; %bb.27:                               ;   in Loop: Header=BB9_8 Depth=1
	s_or_b32 exec_lo, exec_lo, s5
.LBB9_28:                               ;   in Loop: Header=BB9_8 Depth=1
	s_mov_b32 s5, 2
.LBB9_29:                               ;   in Loop: Header=BB9_8 Depth=1
	v_mov_b32_e32 v13, v5
	v_mov_b32_e32 v11, v7
	;; [unrolled: 1-line block ×5, first 2 shown]
	s_and_saveexec_b32 s4, s31
	s_cbranch_execz .LBB9_36
; %bb.30:                               ;   in Loop: Header=BB9_8 Depth=1
	v_ashrrev_i32_e32 v10, 31, v9
	s_mov_b32 s5, exec_lo
	v_lshlrev_b64 v[11:12], 2, v[9:10]
	v_add_co_u32 v11, vcc_lo, s10, v11
	v_add_co_ci_u32_e64 v12, null, s11, v12, vcc_lo
	global_load_dword v13, v[11:12], off glc dlc
	s_waitcnt vmcnt(0)
	v_cmpx_eq_u32_e32 0, v13
	s_cbranch_execz .LBB9_35
; %bb.31:                               ;   in Loop: Header=BB9_8 Depth=1
	s_mov_b32 s31, 0
	s_mov_b32 s33, 0
	s_branch .LBB9_33
	.p2align	6
.LBB9_32:                               ;   in Loop: Header=BB9_33 Depth=2
	global_load_dword v13, v[11:12], off glc dlc
	s_cmpk_lt_u32 s33, 0xf43
	s_cselect_b32 s34, -1, 0
	s_cmp_lg_u32 s34, 0
	s_addc_u32 s33, s33, 0
	s_waitcnt vmcnt(0)
	v_cmp_ne_u32_e32 vcc_lo, 0, v13
	s_or_b32 s31, vcc_lo, s31
	s_andn2_b32 exec_lo, exec_lo, s31
	s_cbranch_execz .LBB9_35
.LBB9_33:                               ;   Parent Loop BB9_8 Depth=1
                                        ; =>  This Loop Header: Depth=2
                                        ;       Child Loop BB9_34 Depth 3
	s_cmp_eq_u32 s33, 0
	s_mov_b32 s34, s33
	s_cbranch_scc1 .LBB9_32
.LBB9_34:                               ;   Parent Loop BB9_8 Depth=1
                                        ;     Parent Loop BB9_33 Depth=2
                                        ; =>    This Inner Loop Header: Depth=3
	s_add_i32 s34, s34, -1
	s_sleep 1
	s_cmp_eq_u32 s34, 0
	s_cbranch_scc0 .LBB9_34
	s_branch .LBB9_32
.LBB9_35:                               ;   in Loop: Header=BB9_8 Depth=1
	s_or_b32 exec_lo, exec_lo, s5
	v_lshlrev_b64 v[9:10], 4, v[9:10]
	s_waitcnt lgkmcnt(0)
	s_waitcnt_vscnt null, 0x0
	buffer_gl1_inv
	buffer_gl0_inv
	s_andn2_b32 s30, s30, exec_lo
	v_add_co_u32 v9, vcc_lo, s8, v9
	v_add_co_ci_u32_e64 v10, null, s9, v10, vcc_lo
	global_load_dwordx4 v[10:13], v[9:10], off
	s_waitcnt vmcnt(0)
	v_fma_f64 v[16:17], -v[0:1], v[10:11], v[6:7]
	v_fma_f64 v[18:19], -v[2:3], v[10:11], v[4:5]
	v_fma_f64 v[10:11], v[2:3], v[12:13], v[16:17]
	v_fma_f64 v[12:13], -v[0:1], v[12:13], v[18:19]
	v_mov_b32_e32 v16, 0
.LBB9_36:                               ;   in Loop: Header=BB9_8 Depth=1
	s_or_b32 exec_lo, exec_lo, s4
	s_and_saveexec_b32 s4, s30
	s_cbranch_execz .LBB9_40
; %bb.37:                               ;   in Loop: Header=BB9_8 Depth=1
	s_andn2_b32 vcc_lo, exec_lo, s26
	s_cbranch_vccnz .LBB9_39
; %bb.38:                               ;   in Loop: Header=BB9_8 Depth=1
	v_mul_f64 v[9:10], v[2:3], v[2:3]
	v_fma_f64 v[9:10], v[0:1], v[0:1], v[9:10]
	v_div_scale_f64 v[11:12], null, v[9:10], v[9:10], 1.0
	v_div_scale_f64 v[20:21], vcc_lo, 1.0, v[9:10], 1.0
	v_rcp_f64_e32 v[16:17], v[11:12]
	v_fma_f64 v[18:19], -v[11:12], v[16:17], 1.0
	v_fma_f64 v[16:17], v[16:17], v[18:19], v[16:17]
	v_fma_f64 v[18:19], -v[11:12], v[16:17], 1.0
	v_fma_f64 v[16:17], v[16:17], v[18:19], v[16:17]
	v_mul_f64 v[18:19], v[20:21], v[16:17]
	v_fma_f64 v[11:12], -v[11:12], v[18:19], v[20:21]
	v_div_fmas_f64 v[11:12], v[11:12], v[16:17], v[18:19]
	v_fma_f64 v[16:17], v[2:3], 0, v[0:1]
	v_fma_f64 v[2:3], v[0:1], 0, -v[2:3]
	v_div_fixup_f64 v[9:10], v[11:12], v[9:10], 1.0
	v_mul_f64 v[0:1], v[16:17], v[9:10]
	v_mul_f64 v[2:3], v[2:3], v[9:10]
	v_mov_b32_e32 v9, s29
	ds_write_b128 v9, v[0:3]
.LBB9_39:                               ;   in Loop: Header=BB9_8 Depth=1
	v_mov_b32_e32 v11, v7
	v_mov_b32_e32 v13, v5
	;; [unrolled: 1-line block ×5, first 2 shown]
.LBB9_40:                               ;   in Loop: Header=BB9_8 Depth=1
	s_or_b32 exec_lo, exec_lo, s4
	v_mov_b32_e32 v4, v12
	v_mov_b32_e32 v6, v10
	;; [unrolled: 1-line block ×4, first 2 shown]
	s_mov_b32 s4, -1
	s_mov_b32 s5, -1
	s_mov_b32 s30, exec_lo
	v_cmpx_gt_i32_e32 4, v16
; %bb.41:                               ;   in Loop: Header=BB9_8 Depth=1
	v_cmp_eq_u32_e32 vcc_lo, 0, v16
	s_orn2_b32 s5, vcc_lo, exec_lo
; %bb.42:                               ;   in Loop: Header=BB9_8 Depth=1
	s_or_b32 exec_lo, exec_lo, s30
	s_and_saveexec_b32 s30, s5
	s_cbranch_execz .LBB9_7
; %bb.43:                               ;   in Loop: Header=BB9_8 Depth=1
	v_add_nc_u32_e32 v8, 64, v8
	v_cmp_le_i32_e32 vcc_lo, s25, v8
	s_orn2_b32 s4, vcc_lo, exec_lo
	s_branch .LBB9_7
.LBB9_44:
	s_or_b32 exec_lo, exec_lo, s27
.LBB9_45:
	s_or_b32 exec_lo, exec_lo, s24
	v_mbcnt_lo_u32_b32 v8, -1, 0
	s_cmp_lg_u32 s14, 0
	v_or_b32_e32 v0, 32, v8
	v_cmp_gt_i32_e32 vcc_lo, 32, v0
	v_cndmask_b32_e32 v0, v8, v0, vcc_lo
	v_lshlrev_b32_e32 v3, 2, v0
	ds_bpermute_b32 v0, v3, v6
	ds_bpermute_b32 v1, v3, v7
	;; [unrolled: 1-line block ×4, first 2 shown]
	s_waitcnt lgkmcnt(2)
	v_add_f64 v[0:1], v[6:7], v[0:1]
	s_waitcnt lgkmcnt(0)
	v_add_f64 v[2:3], v[4:5], v[2:3]
	v_xor_b32_e32 v4, 16, v8
	v_cmp_gt_i32_e32 vcc_lo, 32, v4
	v_cndmask_b32_e32 v4, v8, v4, vcc_lo
	v_lshlrev_b32_e32 v7, 2, v4
	ds_bpermute_b32 v4, v7, v0
	ds_bpermute_b32 v5, v7, v1
	ds_bpermute_b32 v6, v7, v2
	ds_bpermute_b32 v7, v7, v3
	s_waitcnt lgkmcnt(2)
	v_add_f64 v[0:1], v[0:1], v[4:5]
	v_xor_b32_e32 v4, 8, v8
	s_waitcnt lgkmcnt(0)
	v_add_f64 v[2:3], v[2:3], v[6:7]
	v_cmp_gt_i32_e32 vcc_lo, 32, v4
	v_cndmask_b32_e32 v4, v8, v4, vcc_lo
	v_lshlrev_b32_e32 v7, 2, v4
	ds_bpermute_b32 v4, v7, v0
	ds_bpermute_b32 v5, v7, v1
	ds_bpermute_b32 v6, v7, v2
	ds_bpermute_b32 v7, v7, v3
	s_waitcnt lgkmcnt(2)
	v_add_f64 v[0:1], v[0:1], v[4:5]
	v_xor_b32_e32 v4, 4, v8
	s_waitcnt lgkmcnt(0)
	v_add_f64 v[2:3], v[2:3], v[6:7]
	;; [unrolled: 12-line block ×4, first 2 shown]
	v_cmp_gt_i32_e32 vcc_lo, 32, v4
	v_cndmask_b32_e32 v4, v8, v4, vcc_lo
	v_lshlrev_b32_e32 v7, 2, v4
	ds_bpermute_b32 v4, v7, v0
	ds_bpermute_b32 v5, v7, v1
	;; [unrolled: 1-line block ×4, first 2 shown]
	s_waitcnt lgkmcnt(2)
	v_add_f64 v[0:1], v[0:1], v[4:5]
	s_waitcnt lgkmcnt(0)
	v_add_f64 v[2:3], v[2:3], v[6:7]
	s_cbranch_scc1 .LBB9_47
; %bb.46:
	s_lshl_b32 s4, s15, 4
	s_waitcnt_vscnt null, 0x0
	buffer_gl0_inv
	v_mov_b32_e32 v4, s4
	ds_read_b128 v[4:7], v4
	s_waitcnt lgkmcnt(0)
	v_mul_f64 v[8:9], v[6:7], -v[2:3]
	v_mul_f64 v[6:7], v[0:1], v[6:7]
	v_fma_f64 v[0:1], v[0:1], v[4:5], v[8:9]
	v_fma_f64 v[2:3], v[2:3], v[4:5], v[6:7]
.LBB9_47:
	s_mov_b32 s4, exec_lo
	v_cmpx_eq_u32_e32 63, v14
	s_cbranch_execz .LBB9_49
; %bb.48:
	s_lshl_b64 s[4:5], s[20:21], 4
	v_mov_b32_e32 v4, 0
	s_add_u32 s4, s8, s4
	v_mov_b32_e32 v5, 1
	s_addc_u32 s5, s9, s5
	s_add_u32 s6, s10, s6
	s_addc_u32 s7, s11, s7
	global_store_dwordx4 v4, v[0:3], s[4:5] glc slc
	s_waitcnt_vscnt null, 0x0
	global_store_dword v4, v5, s[6:7]
.LBB9_49:
	s_endpgm
	.section	.rodata,"a",@progbits
	.p2align	6, 0x0
	.amdhsa_kernel _ZN9rocsparseL12csrsv_kernelILj1024ELj64ELb1Eii21rocsparse_complex_numIdEEEvT3_NS_24const_host_device_scalarIT4_EEPKT2_PKS3_PKS5_SD_lPS5_PiSB_iPS3_21rocsparse_index_base_20rocsparse_fill_mode_20rocsparse_diag_type_b
		.amdhsa_group_segment_fixed_size 256
		.amdhsa_private_segment_fixed_size 16
		.amdhsa_kernarg_size 120
		.amdhsa_user_sgpr_count 8
		.amdhsa_user_sgpr_private_segment_buffer 1
		.amdhsa_user_sgpr_dispatch_ptr 0
		.amdhsa_user_sgpr_queue_ptr 0
		.amdhsa_user_sgpr_kernarg_segment_ptr 1
		.amdhsa_user_sgpr_dispatch_id 0
		.amdhsa_user_sgpr_flat_scratch_init 1
		.amdhsa_user_sgpr_private_segment_size 0
		.amdhsa_wavefront_size32 1
		.amdhsa_uses_dynamic_stack 0
		.amdhsa_system_sgpr_private_segment_wavefront_offset 1
		.amdhsa_system_sgpr_workgroup_id_x 1
		.amdhsa_system_sgpr_workgroup_id_y 0
		.amdhsa_system_sgpr_workgroup_id_z 0
		.amdhsa_system_sgpr_workgroup_info 0
		.amdhsa_system_vgpr_workitem_id 0
		.amdhsa_next_free_vgpr 22
		.amdhsa_next_free_sgpr 35
		.amdhsa_reserve_vcc 1
		.amdhsa_reserve_flat_scratch 1
		.amdhsa_float_round_mode_32 0
		.amdhsa_float_round_mode_16_64 0
		.amdhsa_float_denorm_mode_32 3
		.amdhsa_float_denorm_mode_16_64 3
		.amdhsa_dx10_clamp 1
		.amdhsa_ieee_mode 1
		.amdhsa_fp16_overflow 0
		.amdhsa_workgroup_processor_mode 1
		.amdhsa_memory_ordered 1
		.amdhsa_forward_progress 1
		.amdhsa_shared_vgpr_count 0
		.amdhsa_exception_fp_ieee_invalid_op 0
		.amdhsa_exception_fp_denorm_src 0
		.amdhsa_exception_fp_ieee_div_zero 0
		.amdhsa_exception_fp_ieee_overflow 0
		.amdhsa_exception_fp_ieee_underflow 0
		.amdhsa_exception_fp_ieee_inexact 0
		.amdhsa_exception_int_div_zero 0
	.end_amdhsa_kernel
	.section	.text._ZN9rocsparseL12csrsv_kernelILj1024ELj64ELb1Eii21rocsparse_complex_numIdEEEvT3_NS_24const_host_device_scalarIT4_EEPKT2_PKS3_PKS5_SD_lPS5_PiSB_iPS3_21rocsparse_index_base_20rocsparse_fill_mode_20rocsparse_diag_type_b,"axG",@progbits,_ZN9rocsparseL12csrsv_kernelILj1024ELj64ELb1Eii21rocsparse_complex_numIdEEEvT3_NS_24const_host_device_scalarIT4_EEPKT2_PKS3_PKS5_SD_lPS5_PiSB_iPS3_21rocsparse_index_base_20rocsparse_fill_mode_20rocsparse_diag_type_b,comdat
.Lfunc_end9:
	.size	_ZN9rocsparseL12csrsv_kernelILj1024ELj64ELb1Eii21rocsparse_complex_numIdEEEvT3_NS_24const_host_device_scalarIT4_EEPKT2_PKS3_PKS5_SD_lPS5_PiSB_iPS3_21rocsparse_index_base_20rocsparse_fill_mode_20rocsparse_diag_type_b, .Lfunc_end9-_ZN9rocsparseL12csrsv_kernelILj1024ELj64ELb1Eii21rocsparse_complex_numIdEEEvT3_NS_24const_host_device_scalarIT4_EEPKT2_PKS3_PKS5_SD_lPS5_PiSB_iPS3_21rocsparse_index_base_20rocsparse_fill_mode_20rocsparse_diag_type_b
                                        ; -- End function
	.set _ZN9rocsparseL12csrsv_kernelILj1024ELj64ELb1Eii21rocsparse_complex_numIdEEEvT3_NS_24const_host_device_scalarIT4_EEPKT2_PKS3_PKS5_SD_lPS5_PiSB_iPS3_21rocsparse_index_base_20rocsparse_fill_mode_20rocsparse_diag_type_b.num_vgpr, 22
	.set _ZN9rocsparseL12csrsv_kernelILj1024ELj64ELb1Eii21rocsparse_complex_numIdEEEvT3_NS_24const_host_device_scalarIT4_EEPKT2_PKS3_PKS5_SD_lPS5_PiSB_iPS3_21rocsparse_index_base_20rocsparse_fill_mode_20rocsparse_diag_type_b.num_agpr, 0
	.set _ZN9rocsparseL12csrsv_kernelILj1024ELj64ELb1Eii21rocsparse_complex_numIdEEEvT3_NS_24const_host_device_scalarIT4_EEPKT2_PKS3_PKS5_SD_lPS5_PiSB_iPS3_21rocsparse_index_base_20rocsparse_fill_mode_20rocsparse_diag_type_b.numbered_sgpr, 35
	.set _ZN9rocsparseL12csrsv_kernelILj1024ELj64ELb1Eii21rocsparse_complex_numIdEEEvT3_NS_24const_host_device_scalarIT4_EEPKT2_PKS3_PKS5_SD_lPS5_PiSB_iPS3_21rocsparse_index_base_20rocsparse_fill_mode_20rocsparse_diag_type_b.num_named_barrier, 0
	.set _ZN9rocsparseL12csrsv_kernelILj1024ELj64ELb1Eii21rocsparse_complex_numIdEEEvT3_NS_24const_host_device_scalarIT4_EEPKT2_PKS3_PKS5_SD_lPS5_PiSB_iPS3_21rocsparse_index_base_20rocsparse_fill_mode_20rocsparse_diag_type_b.private_seg_size, 16
	.set _ZN9rocsparseL12csrsv_kernelILj1024ELj64ELb1Eii21rocsparse_complex_numIdEEEvT3_NS_24const_host_device_scalarIT4_EEPKT2_PKS3_PKS5_SD_lPS5_PiSB_iPS3_21rocsparse_index_base_20rocsparse_fill_mode_20rocsparse_diag_type_b.uses_vcc, 1
	.set _ZN9rocsparseL12csrsv_kernelILj1024ELj64ELb1Eii21rocsparse_complex_numIdEEEvT3_NS_24const_host_device_scalarIT4_EEPKT2_PKS3_PKS5_SD_lPS5_PiSB_iPS3_21rocsparse_index_base_20rocsparse_fill_mode_20rocsparse_diag_type_b.uses_flat_scratch, 1
	.set _ZN9rocsparseL12csrsv_kernelILj1024ELj64ELb1Eii21rocsparse_complex_numIdEEEvT3_NS_24const_host_device_scalarIT4_EEPKT2_PKS3_PKS5_SD_lPS5_PiSB_iPS3_21rocsparse_index_base_20rocsparse_fill_mode_20rocsparse_diag_type_b.has_dyn_sized_stack, 0
	.set _ZN9rocsparseL12csrsv_kernelILj1024ELj64ELb1Eii21rocsparse_complex_numIdEEEvT3_NS_24const_host_device_scalarIT4_EEPKT2_PKS3_PKS5_SD_lPS5_PiSB_iPS3_21rocsparse_index_base_20rocsparse_fill_mode_20rocsparse_diag_type_b.has_recursion, 0
	.set _ZN9rocsparseL12csrsv_kernelILj1024ELj64ELb1Eii21rocsparse_complex_numIdEEEvT3_NS_24const_host_device_scalarIT4_EEPKT2_PKS3_PKS5_SD_lPS5_PiSB_iPS3_21rocsparse_index_base_20rocsparse_fill_mode_20rocsparse_diag_type_b.has_indirect_call, 0
	.section	.AMDGPU.csdata,"",@progbits
; Kernel info:
; codeLenInByte = 2108
; TotalNumSgprs: 37
; NumVgprs: 22
; ScratchSize: 16
; MemoryBound: 0
; FloatMode: 240
; IeeeMode: 1
; LDSByteSize: 256 bytes/workgroup (compile time only)
; SGPRBlocks: 0
; VGPRBlocks: 2
; NumSGPRsForWavesPerEU: 37
; NumVGPRsForWavesPerEU: 22
; Occupancy: 16
; WaveLimiterHint : 1
; COMPUTE_PGM_RSRC2:SCRATCH_EN: 1
; COMPUTE_PGM_RSRC2:USER_SGPR: 8
; COMPUTE_PGM_RSRC2:TRAP_HANDLER: 0
; COMPUTE_PGM_RSRC2:TGID_X_EN: 1
; COMPUTE_PGM_RSRC2:TGID_Y_EN: 0
; COMPUTE_PGM_RSRC2:TGID_Z_EN: 0
; COMPUTE_PGM_RSRC2:TIDIG_COMP_CNT: 0
	.section	.text._ZN9rocsparseL12csrsv_kernelILj1024ELj32ELb0Eii21rocsparse_complex_numIdEEEvT3_NS_24const_host_device_scalarIT4_EEPKT2_PKS3_PKS5_SD_lPS5_PiSB_iPS3_21rocsparse_index_base_20rocsparse_fill_mode_20rocsparse_diag_type_b,"axG",@progbits,_ZN9rocsparseL12csrsv_kernelILj1024ELj32ELb0Eii21rocsparse_complex_numIdEEEvT3_NS_24const_host_device_scalarIT4_EEPKT2_PKS3_PKS5_SD_lPS5_PiSB_iPS3_21rocsparse_index_base_20rocsparse_fill_mode_20rocsparse_diag_type_b,comdat
	.globl	_ZN9rocsparseL12csrsv_kernelILj1024ELj32ELb0Eii21rocsparse_complex_numIdEEEvT3_NS_24const_host_device_scalarIT4_EEPKT2_PKS3_PKS5_SD_lPS5_PiSB_iPS3_21rocsparse_index_base_20rocsparse_fill_mode_20rocsparse_diag_type_b ; -- Begin function _ZN9rocsparseL12csrsv_kernelILj1024ELj32ELb0Eii21rocsparse_complex_numIdEEEvT3_NS_24const_host_device_scalarIT4_EEPKT2_PKS3_PKS5_SD_lPS5_PiSB_iPS3_21rocsparse_index_base_20rocsparse_fill_mode_20rocsparse_diag_type_b
	.p2align	8
	.type	_ZN9rocsparseL12csrsv_kernelILj1024ELj32ELb0Eii21rocsparse_complex_numIdEEEvT3_NS_24const_host_device_scalarIT4_EEPKT2_PKS3_PKS5_SD_lPS5_PiSB_iPS3_21rocsparse_index_base_20rocsparse_fill_mode_20rocsparse_diag_type_b,@function
_ZN9rocsparseL12csrsv_kernelILj1024ELj32ELb0Eii21rocsparse_complex_numIdEEEvT3_NS_24const_host_device_scalarIT4_EEPKT2_PKS3_PKS5_SD_lPS5_PiSB_iPS3_21rocsparse_index_base_20rocsparse_fill_mode_20rocsparse_diag_type_b: ; @_ZN9rocsparseL12csrsv_kernelILj1024ELj32ELb0Eii21rocsparse_complex_numIdEEEvT3_NS_24const_host_device_scalarIT4_EEPKT2_PKS3_PKS5_SD_lPS5_PiSB_iPS3_21rocsparse_index_base_20rocsparse_fill_mode_20rocsparse_diag_type_b
; %bb.0:
	s_add_u32 s6, s6, s9
	s_addc_u32 s7, s7, 0
	s_setreg_b32 hwreg(HW_REG_FLAT_SCR_LO), s6
	s_setreg_b32 hwreg(HW_REG_FLAT_SCR_HI), s7
	s_clause 0x1
	s_load_dwordx4 s[12:15], s[4:5], 0x68
	s_load_dwordx4 s[16:19], s[4:5], 0x8
	s_add_u32 s0, s0, s9
	s_addc_u32 s1, s1, 0
	s_mov_b64 s[6:7], src_private_base
	s_waitcnt lgkmcnt(0)
	s_bitcmp1_b32 s15, 0
	v_mov_b32_e32 v3, s17
	s_cselect_b32 s6, -1, 0
	v_mov_b32_e32 v4, s16
	s_and_b32 vcc_lo, s6, exec_lo
	s_cselect_b32 s6, 0, s16
	s_cselect_b32 s7, s7, s17
	v_mov_b32_e32 v1, s6
	v_mov_b32_e32 v2, s7
	buffer_store_dword v3, off, s[0:3], 0 offset:4
	buffer_store_dword v4, off, s[0:3], 0
	v_mov_b32_e32 v8, s18
	v_mov_b32_e32 v9, s19
	flat_load_dwordx2 v[1:2], v[1:2]
	s_cbranch_vccnz .LBB10_2
; %bb.1:
	v_mov_b32_e32 v3, s16
	v_mov_b32_e32 v4, s17
	flat_load_dwordx2 v[8:9], v[3:4] offset:8
.LBB10_2:
	s_load_dword s7, s[4:5], 0x0
	v_readfirstlane_b32 s6, v0
	s_lshr_b32 s15, s6, 5
	s_lshl_b32 s6, s8, 5
	s_add_i32 s6, s15, s6
	s_waitcnt lgkmcnt(0)
	s_cmp_ge_i32 s6, s7
	s_cbranch_scc1 .LBB10_47
; %bb.3:
	s_clause 0x1
	s_load_dword s7, s[4:5], 0x58
	s_load_dwordx2 s[8:9], s[4:5], 0x50
	v_mov_b32_e32 v6, 0
	v_mov_b32_e32 v4, 0
	v_and_b32_e32 v14, 31, v0
	v_mov_b32_e32 v7, 0
	v_mov_b32_e32 v5, 0
	s_mov_b32 s18, exec_lo
	s_waitcnt lgkmcnt(0)
	s_add_i32 s6, s6, s7
	s_ashr_i32 s7, s6, 31
	s_lshl_b64 s[6:7], s[6:7], 2
	s_add_u32 s6, s8, s6
	s_addc_u32 s7, s9, s7
	s_load_dword s20, s[6:7], 0x0
	s_load_dwordx2 s[8:9], s[4:5], 0x18
	s_waitcnt lgkmcnt(0)
	s_ashr_i32 s21, s20, 31
	s_lshl_b64 s[6:7], s[20:21], 2
	s_add_u32 s16, s8, s6
	s_addc_u32 s17, s9, s7
	s_load_dwordx4 s[8:11], s[4:5], 0x40
	s_load_dwordx2 s[16:17], s[16:17], 0x0
	v_cmpx_eq_u32_e32 0, v14
	s_cbranch_execz .LBB10_5
; %bb.4:
	s_load_dwordx4 s[24:27], s[4:5], 0x30
	s_waitcnt lgkmcnt(0)
	s_mul_i32 s19, s26, s21
	s_mul_hi_u32 s22, s26, s20
	s_mul_i32 s23, s27, s20
	s_add_i32 s19, s22, s19
	s_mul_i32 s22, s26, s20
	s_add_i32 s23, s19, s23
	s_lshl_b64 s[22:23], s[22:23], 4
	s_add_u32 s22, s24, s22
	s_addc_u32 s23, s25, s23
	s_load_dwordx4 s[24:27], s[22:23], 0x0
	s_waitcnt vmcnt(0) lgkmcnt(0)
	v_mul_f64 v[3:4], s[26:27], -v[8:9]
	v_mul_f64 v[10:11], v[1:2], s[26:27]
	v_fma_f64 v[6:7], v[1:2], s[24:25], v[3:4]
	v_fma_f64 v[4:5], v[8:9], s[24:25], v[10:11]
.LBB10_5:
	s_or_b32 exec_lo, exec_lo, s18
	v_subrev_nc_u32_e32 v0, s12, v14
	s_waitcnt lgkmcnt(0)
	s_sub_i32 s25, s17, s12
	s_mov_b32 s24, exec_lo
	s_waitcnt vmcnt(0)
	v_add_nc_u32_e32 v8, s16, v0
	v_cmpx_gt_i32_e64 s25, v8
	s_cbranch_execz .LBB10_43
; %bb.6:
	s_clause 0x1
	s_load_dwordx2 s[22:23], s[4:5], 0x60
	s_load_dwordx4 s[16:19], s[4:5], 0x20
	v_mov_b32_e32 v15, 0
	s_cmp_eq_u32 s14, 0
	s_mov_b32 s27, 0
	s_cselect_b32 s26, -1, 0
	s_add_i32 s28, s20, s12
	s_lshl_b32 s29, s15, 4
	s_branch .LBB10_8
.LBB10_7:                               ;   in Loop: Header=BB10_8 Depth=1
	s_or_b32 exec_lo, exec_lo, s30
	s_and_b32 s4, exec_lo, s4
	s_or_b32 s27, s4, s27
	s_andn2_b32 exec_lo, exec_lo, s27
	s_cbranch_execz .LBB10_42
.LBB10_8:                               ; =>This Loop Header: Depth=1
                                        ;     Child Loop BB10_32 Depth 2
	v_ashrrev_i32_e32 v9, 31, v8
	v_lshlrev_b64 v[0:1], 4, v[8:9]
	v_lshlrev_b64 v[9:10], 2, v[8:9]
	s_waitcnt lgkmcnt(0)
	v_add_co_u32 v0, vcc_lo, s18, v0
	v_add_co_ci_u32_e64 v1, null, s19, v1, vcc_lo
	v_add_co_u32 v9, vcc_lo, s16, v9
	v_add_co_ci_u32_e64 v10, null, s17, v10, vcc_lo
	global_load_dwordx4 v[0:3], v[0:1], off slc
	global_load_dword v9, v[9:10], off slc
	s_waitcnt vmcnt(1)
	v_cmp_eq_f64_e64 s4, 0, v[0:1]
	v_cmp_eq_f64_e64 s5, 0, v[2:3]
	s_waitcnt vmcnt(0)
	v_subrev_nc_u32_e32 v9, s12, v9
	v_cmp_eq_u32_e32 vcc_lo, s20, v9
	s_and_b32 s5, s4, s5
	v_cmp_ne_u32_e64 s4, s20, v9
	s_and_b32 s5, s5, vcc_lo
	s_and_b32 s5, s26, s5
	s_and_saveexec_b32 s30, s5
	s_cbranch_execz .LBB10_12
; %bb.9:                                ;   in Loop: Header=BB10_8 Depth=1
	v_mbcnt_lo_u32_b32 v0, exec_lo, 0
	s_mov_b32 s31, exec_lo
	v_cmpx_eq_u32_e32 0, v0
	s_cbranch_execz .LBB10_11
; %bb.10:                               ;   in Loop: Header=BB10_8 Depth=1
	v_mov_b32_e32 v0, s28
	global_atomic_smin v15, v0, s[22:23]
.LBB10_11:                              ;   in Loop: Header=BB10_8 Depth=1
	s_or_b32 exec_lo, exec_lo, s31
	v_mov_b32_e32 v2, 0
	v_mov_b32_e32 v0, 0
	;; [unrolled: 1-line block ×4, first 2 shown]
.LBB10_12:                              ;   in Loop: Header=BB10_8 Depth=1
	s_or_b32 exec_lo, exec_lo, s30
	s_mov_b32 s5, -1
	s_mov_b32 s30, 0
	s_cmp_lt_i32 s13, 1
	s_mov_b32 s31, 0
	s_cbranch_scc1 .LBB10_22
; %bb.13:                               ;   in Loop: Header=BB10_8 Depth=1
	s_cmp_eq_u32 s13, 1
	s_mov_b32 s31, -1
	s_cbranch_scc0 .LBB10_21
; %bb.14:                               ;   in Loop: Header=BB10_8 Depth=1
	s_mov_b32 s31, 0
	s_mov_b32 s33, exec_lo
	v_cmpx_le_i32_e64 s20, v9
	s_cbranch_execz .LBB10_20
; %bb.15:                               ;   in Loop: Header=BB10_8 Depth=1
	s_mov_b32 s31, -1
	s_and_saveexec_b32 s5, vcc_lo
	s_xor_b32 s5, exec_lo, s5
	s_cbranch_execz .LBB10_19
; %bb.16:                               ;   in Loop: Header=BB10_8 Depth=1
	s_andn2_b32 vcc_lo, exec_lo, s26
	s_cbranch_vccnz .LBB10_18
; %bb.17:                               ;   in Loop: Header=BB10_8 Depth=1
	v_mul_f64 v[10:11], v[2:3], v[2:3]
	v_fma_f64 v[10:11], v[0:1], v[0:1], v[10:11]
	v_div_scale_f64 v[12:13], null, v[10:11], v[10:11], 1.0
	v_div_scale_f64 v[20:21], vcc_lo, 1.0, v[10:11], 1.0
	v_rcp_f64_e32 v[16:17], v[12:13]
	v_fma_f64 v[18:19], -v[12:13], v[16:17], 1.0
	v_fma_f64 v[16:17], v[16:17], v[18:19], v[16:17]
	v_fma_f64 v[18:19], -v[12:13], v[16:17], 1.0
	v_fma_f64 v[16:17], v[16:17], v[18:19], v[16:17]
	v_mul_f64 v[18:19], v[20:21], v[16:17]
	v_fma_f64 v[12:13], -v[12:13], v[18:19], v[20:21]
	v_div_fmas_f64 v[12:13], v[12:13], v[16:17], v[18:19]
	v_fma_f64 v[16:17], v[2:3], 0, v[0:1]
	v_fma_f64 v[18:19], v[0:1], 0, -v[2:3]
	v_div_fixup_f64 v[12:13], v[12:13], v[10:11], 1.0
	v_mul_f64 v[10:11], v[16:17], v[12:13]
	v_mul_f64 v[12:13], v[18:19], v[12:13]
	v_mov_b32_e32 v16, s29
	ds_write_b128 v16, v[10:13]
.LBB10_18:                              ;   in Loop: Header=BB10_8 Depth=1
	s_xor_b32 s31, exec_lo, -1
.LBB10_19:                              ;   in Loop: Header=BB10_8 Depth=1
	s_or_b32 exec_lo, exec_lo, s5
	s_and_b32 s31, s31, exec_lo
.LBB10_20:                              ;   in Loop: Header=BB10_8 Depth=1
	s_or_b32 exec_lo, exec_lo, s33
.LBB10_21:                              ;   in Loop: Header=BB10_8 Depth=1
	s_mov_b32 s5, 0
.LBB10_22:                              ;   in Loop: Header=BB10_8 Depth=1
	s_and_b32 vcc_lo, exec_lo, s5
	s_mov_b32 s5, 4
	s_cbranch_vccz .LBB10_29
; %bb.23:                               ;   in Loop: Header=BB10_8 Depth=1
	s_cmp_eq_u32 s13, 0
	s_cbranch_scc1 .LBB10_25
; %bb.24:                               ;   in Loop: Header=BB10_8 Depth=1
	s_mov_b32 s31, -1
	s_branch .LBB10_28
.LBB10_25:                              ;   in Loop: Header=BB10_8 Depth=1
	s_mov_b32 s31, 0
	s_mov_b32 s5, exec_lo
	v_cmpx_ge_i32_e64 s20, v9
; %bb.26:                               ;   in Loop: Header=BB10_8 Depth=1
	s_mov_b32 s30, exec_lo
	s_and_b32 s31, s4, exec_lo
; %bb.27:                               ;   in Loop: Header=BB10_8 Depth=1
	s_or_b32 exec_lo, exec_lo, s5
.LBB10_28:                              ;   in Loop: Header=BB10_8 Depth=1
	s_mov_b32 s5, 2
.LBB10_29:                              ;   in Loop: Header=BB10_8 Depth=1
	v_mov_b32_e32 v13, v5
	v_mov_b32_e32 v11, v7
	;; [unrolled: 1-line block ×5, first 2 shown]
	s_and_saveexec_b32 s4, s31
	s_cbranch_execz .LBB10_34
; %bb.30:                               ;   in Loop: Header=BB10_8 Depth=1
	v_ashrrev_i32_e32 v10, 31, v9
	s_mov_b32 s5, exec_lo
	v_lshlrev_b64 v[11:12], 2, v[9:10]
	v_add_co_u32 v11, vcc_lo, s10, v11
	v_add_co_ci_u32_e64 v12, null, s11, v12, vcc_lo
	global_load_dword v13, v[11:12], off glc dlc
	s_waitcnt vmcnt(0)
	v_cmpx_eq_u32_e32 0, v13
	s_cbranch_execz .LBB10_33
; %bb.31:                               ;   in Loop: Header=BB10_8 Depth=1
	s_mov_b32 s31, 0
.LBB10_32:                              ;   Parent Loop BB10_8 Depth=1
                                        ; =>  This Inner Loop Header: Depth=2
	global_load_dword v13, v[11:12], off glc dlc
	s_waitcnt vmcnt(0)
	v_cmp_ne_u32_e32 vcc_lo, 0, v13
	s_or_b32 s31, vcc_lo, s31
	s_andn2_b32 exec_lo, exec_lo, s31
	s_cbranch_execnz .LBB10_32
.LBB10_33:                              ;   in Loop: Header=BB10_8 Depth=1
	s_or_b32 exec_lo, exec_lo, s5
	v_lshlrev_b64 v[9:10], 4, v[9:10]
	s_waitcnt lgkmcnt(0)
	s_waitcnt_vscnt null, 0x0
	buffer_gl1_inv
	buffer_gl0_inv
	s_andn2_b32 s30, s30, exec_lo
	v_add_co_u32 v9, vcc_lo, s8, v9
	v_add_co_ci_u32_e64 v10, null, s9, v10, vcc_lo
	global_load_dwordx4 v[10:13], v[9:10], off
	s_waitcnt vmcnt(0)
	v_fma_f64 v[16:17], -v[0:1], v[10:11], v[6:7]
	v_fma_f64 v[18:19], -v[2:3], v[10:11], v[4:5]
	v_fma_f64 v[10:11], v[2:3], v[12:13], v[16:17]
	v_fma_f64 v[12:13], -v[0:1], v[12:13], v[18:19]
	v_mov_b32_e32 v16, 0
.LBB10_34:                              ;   in Loop: Header=BB10_8 Depth=1
	s_or_b32 exec_lo, exec_lo, s4
	s_and_saveexec_b32 s4, s30
	s_cbranch_execz .LBB10_38
; %bb.35:                               ;   in Loop: Header=BB10_8 Depth=1
	s_andn2_b32 vcc_lo, exec_lo, s26
	s_cbranch_vccnz .LBB10_37
; %bb.36:                               ;   in Loop: Header=BB10_8 Depth=1
	v_mul_f64 v[9:10], v[2:3], v[2:3]
	v_fma_f64 v[9:10], v[0:1], v[0:1], v[9:10]
	v_div_scale_f64 v[11:12], null, v[9:10], v[9:10], 1.0
	v_div_scale_f64 v[20:21], vcc_lo, 1.0, v[9:10], 1.0
	v_rcp_f64_e32 v[16:17], v[11:12]
	v_fma_f64 v[18:19], -v[11:12], v[16:17], 1.0
	v_fma_f64 v[16:17], v[16:17], v[18:19], v[16:17]
	v_fma_f64 v[18:19], -v[11:12], v[16:17], 1.0
	v_fma_f64 v[16:17], v[16:17], v[18:19], v[16:17]
	v_mul_f64 v[18:19], v[20:21], v[16:17]
	v_fma_f64 v[11:12], -v[11:12], v[18:19], v[20:21]
	v_div_fmas_f64 v[11:12], v[11:12], v[16:17], v[18:19]
	v_fma_f64 v[16:17], v[2:3], 0, v[0:1]
	v_fma_f64 v[2:3], v[0:1], 0, -v[2:3]
	v_div_fixup_f64 v[9:10], v[11:12], v[9:10], 1.0
	v_mul_f64 v[0:1], v[16:17], v[9:10]
	v_mul_f64 v[2:3], v[2:3], v[9:10]
	v_mov_b32_e32 v9, s29
	ds_write_b128 v9, v[0:3]
.LBB10_37:                              ;   in Loop: Header=BB10_8 Depth=1
	v_mov_b32_e32 v11, v7
	v_mov_b32_e32 v13, v5
	;; [unrolled: 1-line block ×5, first 2 shown]
.LBB10_38:                              ;   in Loop: Header=BB10_8 Depth=1
	s_or_b32 exec_lo, exec_lo, s4
	v_mov_b32_e32 v4, v12
	v_mov_b32_e32 v6, v10
	;; [unrolled: 1-line block ×4, first 2 shown]
	s_mov_b32 s4, -1
	s_mov_b32 s5, -1
	s_mov_b32 s30, exec_lo
	v_cmpx_gt_i32_e32 4, v16
; %bb.39:                               ;   in Loop: Header=BB10_8 Depth=1
	v_cmp_eq_u32_e32 vcc_lo, 0, v16
	s_orn2_b32 s5, vcc_lo, exec_lo
; %bb.40:                               ;   in Loop: Header=BB10_8 Depth=1
	s_or_b32 exec_lo, exec_lo, s30
	s_and_saveexec_b32 s30, s5
	s_cbranch_execz .LBB10_7
; %bb.41:                               ;   in Loop: Header=BB10_8 Depth=1
	v_add_nc_u32_e32 v8, 32, v8
	v_cmp_le_i32_e32 vcc_lo, s25, v8
	s_orn2_b32 s4, vcc_lo, exec_lo
	s_branch .LBB10_7
.LBB10_42:
	s_or_b32 exec_lo, exec_lo, s27
.LBB10_43:
	s_or_b32 exec_lo, exec_lo, s24
	v_mbcnt_lo_u32_b32 v8, -1, 0
	s_cmp_lg_u32 s14, 0
	v_xor_b32_e32 v0, 16, v8
	v_cmp_gt_i32_e32 vcc_lo, 32, v0
	v_cndmask_b32_e32 v0, v8, v0, vcc_lo
	v_lshlrev_b32_e32 v3, 2, v0
	ds_bpermute_b32 v0, v3, v6
	ds_bpermute_b32 v1, v3, v7
	;; [unrolled: 1-line block ×4, first 2 shown]
	s_waitcnt lgkmcnt(2)
	v_add_f64 v[0:1], v[6:7], v[0:1]
	s_waitcnt lgkmcnt(0)
	v_add_f64 v[2:3], v[4:5], v[2:3]
	v_xor_b32_e32 v4, 8, v8
	v_cmp_gt_i32_e32 vcc_lo, 32, v4
	v_cndmask_b32_e32 v4, v8, v4, vcc_lo
	v_lshlrev_b32_e32 v7, 2, v4
	ds_bpermute_b32 v4, v7, v0
	ds_bpermute_b32 v5, v7, v1
	ds_bpermute_b32 v6, v7, v2
	ds_bpermute_b32 v7, v7, v3
	s_waitcnt lgkmcnt(2)
	v_add_f64 v[0:1], v[0:1], v[4:5]
	v_xor_b32_e32 v4, 4, v8
	s_waitcnt lgkmcnt(0)
	v_add_f64 v[2:3], v[2:3], v[6:7]
	v_cmp_gt_i32_e32 vcc_lo, 32, v4
	v_cndmask_b32_e32 v4, v8, v4, vcc_lo
	v_lshlrev_b32_e32 v7, 2, v4
	ds_bpermute_b32 v4, v7, v0
	ds_bpermute_b32 v5, v7, v1
	ds_bpermute_b32 v6, v7, v2
	ds_bpermute_b32 v7, v7, v3
	s_waitcnt lgkmcnt(2)
	v_add_f64 v[0:1], v[0:1], v[4:5]
	v_xor_b32_e32 v4, 2, v8
	s_waitcnt lgkmcnt(0)
	v_add_f64 v[2:3], v[2:3], v[6:7]
	;; [unrolled: 12-line block ×3, first 2 shown]
	v_cmp_gt_i32_e32 vcc_lo, 32, v4
	v_cndmask_b32_e32 v4, v8, v4, vcc_lo
	v_lshlrev_b32_e32 v7, 2, v4
	ds_bpermute_b32 v4, v7, v0
	ds_bpermute_b32 v5, v7, v1
	;; [unrolled: 1-line block ×4, first 2 shown]
	s_waitcnt lgkmcnt(2)
	v_add_f64 v[0:1], v[0:1], v[4:5]
	s_waitcnt lgkmcnt(0)
	v_add_f64 v[2:3], v[2:3], v[6:7]
	s_cbranch_scc1 .LBB10_45
; %bb.44:
	s_lshl_b32 s4, s15, 4
	s_waitcnt_vscnt null, 0x0
	buffer_gl0_inv
	v_mov_b32_e32 v4, s4
	ds_read_b128 v[4:7], v4
	s_waitcnt lgkmcnt(0)
	v_mul_f64 v[8:9], v[6:7], -v[2:3]
	v_mul_f64 v[6:7], v[0:1], v[6:7]
	v_fma_f64 v[0:1], v[0:1], v[4:5], v[8:9]
	v_fma_f64 v[2:3], v[2:3], v[4:5], v[6:7]
.LBB10_45:
	s_mov_b32 s4, exec_lo
	v_cmpx_eq_u32_e32 31, v14
	s_cbranch_execz .LBB10_47
; %bb.46:
	s_lshl_b64 s[4:5], s[20:21], 4
	v_mov_b32_e32 v4, 0
	s_add_u32 s4, s8, s4
	v_mov_b32_e32 v5, 1
	s_addc_u32 s5, s9, s5
	s_add_u32 s6, s10, s6
	s_addc_u32 s7, s11, s7
	global_store_dwordx4 v4, v[0:3], s[4:5] glc slc
	s_waitcnt_vscnt null, 0x0
	global_store_dword v4, v5, s[6:7]
.LBB10_47:
	s_endpgm
	.section	.rodata,"a",@progbits
	.p2align	6, 0x0
	.amdhsa_kernel _ZN9rocsparseL12csrsv_kernelILj1024ELj32ELb0Eii21rocsparse_complex_numIdEEEvT3_NS_24const_host_device_scalarIT4_EEPKT2_PKS3_PKS5_SD_lPS5_PiSB_iPS3_21rocsparse_index_base_20rocsparse_fill_mode_20rocsparse_diag_type_b
		.amdhsa_group_segment_fixed_size 512
		.amdhsa_private_segment_fixed_size 16
		.amdhsa_kernarg_size 120
		.amdhsa_user_sgpr_count 8
		.amdhsa_user_sgpr_private_segment_buffer 1
		.amdhsa_user_sgpr_dispatch_ptr 0
		.amdhsa_user_sgpr_queue_ptr 0
		.amdhsa_user_sgpr_kernarg_segment_ptr 1
		.amdhsa_user_sgpr_dispatch_id 0
		.amdhsa_user_sgpr_flat_scratch_init 1
		.amdhsa_user_sgpr_private_segment_size 0
		.amdhsa_wavefront_size32 1
		.amdhsa_uses_dynamic_stack 0
		.amdhsa_system_sgpr_private_segment_wavefront_offset 1
		.amdhsa_system_sgpr_workgroup_id_x 1
		.amdhsa_system_sgpr_workgroup_id_y 0
		.amdhsa_system_sgpr_workgroup_id_z 0
		.amdhsa_system_sgpr_workgroup_info 0
		.amdhsa_system_vgpr_workitem_id 0
		.amdhsa_next_free_vgpr 22
		.amdhsa_next_free_sgpr 34
		.amdhsa_reserve_vcc 1
		.amdhsa_reserve_flat_scratch 1
		.amdhsa_float_round_mode_32 0
		.amdhsa_float_round_mode_16_64 0
		.amdhsa_float_denorm_mode_32 3
		.amdhsa_float_denorm_mode_16_64 3
		.amdhsa_dx10_clamp 1
		.amdhsa_ieee_mode 1
		.amdhsa_fp16_overflow 0
		.amdhsa_workgroup_processor_mode 1
		.amdhsa_memory_ordered 1
		.amdhsa_forward_progress 1
		.amdhsa_shared_vgpr_count 0
		.amdhsa_exception_fp_ieee_invalid_op 0
		.amdhsa_exception_fp_denorm_src 0
		.amdhsa_exception_fp_ieee_div_zero 0
		.amdhsa_exception_fp_ieee_overflow 0
		.amdhsa_exception_fp_ieee_underflow 0
		.amdhsa_exception_fp_ieee_inexact 0
		.amdhsa_exception_int_div_zero 0
	.end_amdhsa_kernel
	.section	.text._ZN9rocsparseL12csrsv_kernelILj1024ELj32ELb0Eii21rocsparse_complex_numIdEEEvT3_NS_24const_host_device_scalarIT4_EEPKT2_PKS3_PKS5_SD_lPS5_PiSB_iPS3_21rocsparse_index_base_20rocsparse_fill_mode_20rocsparse_diag_type_b,"axG",@progbits,_ZN9rocsparseL12csrsv_kernelILj1024ELj32ELb0Eii21rocsparse_complex_numIdEEEvT3_NS_24const_host_device_scalarIT4_EEPKT2_PKS3_PKS5_SD_lPS5_PiSB_iPS3_21rocsparse_index_base_20rocsparse_fill_mode_20rocsparse_diag_type_b,comdat
.Lfunc_end10:
	.size	_ZN9rocsparseL12csrsv_kernelILj1024ELj32ELb0Eii21rocsparse_complex_numIdEEEvT3_NS_24const_host_device_scalarIT4_EEPKT2_PKS3_PKS5_SD_lPS5_PiSB_iPS3_21rocsparse_index_base_20rocsparse_fill_mode_20rocsparse_diag_type_b, .Lfunc_end10-_ZN9rocsparseL12csrsv_kernelILj1024ELj32ELb0Eii21rocsparse_complex_numIdEEEvT3_NS_24const_host_device_scalarIT4_EEPKT2_PKS3_PKS5_SD_lPS5_PiSB_iPS3_21rocsparse_index_base_20rocsparse_fill_mode_20rocsparse_diag_type_b
                                        ; -- End function
	.set _ZN9rocsparseL12csrsv_kernelILj1024ELj32ELb0Eii21rocsparse_complex_numIdEEEvT3_NS_24const_host_device_scalarIT4_EEPKT2_PKS3_PKS5_SD_lPS5_PiSB_iPS3_21rocsparse_index_base_20rocsparse_fill_mode_20rocsparse_diag_type_b.num_vgpr, 22
	.set _ZN9rocsparseL12csrsv_kernelILj1024ELj32ELb0Eii21rocsparse_complex_numIdEEEvT3_NS_24const_host_device_scalarIT4_EEPKT2_PKS3_PKS5_SD_lPS5_PiSB_iPS3_21rocsparse_index_base_20rocsparse_fill_mode_20rocsparse_diag_type_b.num_agpr, 0
	.set _ZN9rocsparseL12csrsv_kernelILj1024ELj32ELb0Eii21rocsparse_complex_numIdEEEvT3_NS_24const_host_device_scalarIT4_EEPKT2_PKS3_PKS5_SD_lPS5_PiSB_iPS3_21rocsparse_index_base_20rocsparse_fill_mode_20rocsparse_diag_type_b.numbered_sgpr, 34
	.set _ZN9rocsparseL12csrsv_kernelILj1024ELj32ELb0Eii21rocsparse_complex_numIdEEEvT3_NS_24const_host_device_scalarIT4_EEPKT2_PKS3_PKS5_SD_lPS5_PiSB_iPS3_21rocsparse_index_base_20rocsparse_fill_mode_20rocsparse_diag_type_b.num_named_barrier, 0
	.set _ZN9rocsparseL12csrsv_kernelILj1024ELj32ELb0Eii21rocsparse_complex_numIdEEEvT3_NS_24const_host_device_scalarIT4_EEPKT2_PKS3_PKS5_SD_lPS5_PiSB_iPS3_21rocsparse_index_base_20rocsparse_fill_mode_20rocsparse_diag_type_b.private_seg_size, 16
	.set _ZN9rocsparseL12csrsv_kernelILj1024ELj32ELb0Eii21rocsparse_complex_numIdEEEvT3_NS_24const_host_device_scalarIT4_EEPKT2_PKS3_PKS5_SD_lPS5_PiSB_iPS3_21rocsparse_index_base_20rocsparse_fill_mode_20rocsparse_diag_type_b.uses_vcc, 1
	.set _ZN9rocsparseL12csrsv_kernelILj1024ELj32ELb0Eii21rocsparse_complex_numIdEEEvT3_NS_24const_host_device_scalarIT4_EEPKT2_PKS3_PKS5_SD_lPS5_PiSB_iPS3_21rocsparse_index_base_20rocsparse_fill_mode_20rocsparse_diag_type_b.uses_flat_scratch, 1
	.set _ZN9rocsparseL12csrsv_kernelILj1024ELj32ELb0Eii21rocsparse_complex_numIdEEEvT3_NS_24const_host_device_scalarIT4_EEPKT2_PKS3_PKS5_SD_lPS5_PiSB_iPS3_21rocsparse_index_base_20rocsparse_fill_mode_20rocsparse_diag_type_b.has_dyn_sized_stack, 0
	.set _ZN9rocsparseL12csrsv_kernelILj1024ELj32ELb0Eii21rocsparse_complex_numIdEEEvT3_NS_24const_host_device_scalarIT4_EEPKT2_PKS3_PKS5_SD_lPS5_PiSB_iPS3_21rocsparse_index_base_20rocsparse_fill_mode_20rocsparse_diag_type_b.has_recursion, 0
	.set _ZN9rocsparseL12csrsv_kernelILj1024ELj32ELb0Eii21rocsparse_complex_numIdEEEvT3_NS_24const_host_device_scalarIT4_EEPKT2_PKS3_PKS5_SD_lPS5_PiSB_iPS3_21rocsparse_index_base_20rocsparse_fill_mode_20rocsparse_diag_type_b.has_indirect_call, 0
	.section	.AMDGPU.csdata,"",@progbits
; Kernel info:
; codeLenInByte = 1980
; TotalNumSgprs: 36
; NumVgprs: 22
; ScratchSize: 16
; MemoryBound: 0
; FloatMode: 240
; IeeeMode: 1
; LDSByteSize: 512 bytes/workgroup (compile time only)
; SGPRBlocks: 0
; VGPRBlocks: 2
; NumSGPRsForWavesPerEU: 36
; NumVGPRsForWavesPerEU: 22
; Occupancy: 16
; WaveLimiterHint : 1
; COMPUTE_PGM_RSRC2:SCRATCH_EN: 1
; COMPUTE_PGM_RSRC2:USER_SGPR: 8
; COMPUTE_PGM_RSRC2:TRAP_HANDLER: 0
; COMPUTE_PGM_RSRC2:TGID_X_EN: 1
; COMPUTE_PGM_RSRC2:TGID_Y_EN: 0
; COMPUTE_PGM_RSRC2:TGID_Z_EN: 0
; COMPUTE_PGM_RSRC2:TIDIG_COMP_CNT: 0
	.section	.text._ZN9rocsparseL12csrsv_kernelILj1024ELj64ELb0Eii21rocsparse_complex_numIdEEEvT3_NS_24const_host_device_scalarIT4_EEPKT2_PKS3_PKS5_SD_lPS5_PiSB_iPS3_21rocsparse_index_base_20rocsparse_fill_mode_20rocsparse_diag_type_b,"axG",@progbits,_ZN9rocsparseL12csrsv_kernelILj1024ELj64ELb0Eii21rocsparse_complex_numIdEEEvT3_NS_24const_host_device_scalarIT4_EEPKT2_PKS3_PKS5_SD_lPS5_PiSB_iPS3_21rocsparse_index_base_20rocsparse_fill_mode_20rocsparse_diag_type_b,comdat
	.globl	_ZN9rocsparseL12csrsv_kernelILj1024ELj64ELb0Eii21rocsparse_complex_numIdEEEvT3_NS_24const_host_device_scalarIT4_EEPKT2_PKS3_PKS5_SD_lPS5_PiSB_iPS3_21rocsparse_index_base_20rocsparse_fill_mode_20rocsparse_diag_type_b ; -- Begin function _ZN9rocsparseL12csrsv_kernelILj1024ELj64ELb0Eii21rocsparse_complex_numIdEEEvT3_NS_24const_host_device_scalarIT4_EEPKT2_PKS3_PKS5_SD_lPS5_PiSB_iPS3_21rocsparse_index_base_20rocsparse_fill_mode_20rocsparse_diag_type_b
	.p2align	8
	.type	_ZN9rocsparseL12csrsv_kernelILj1024ELj64ELb0Eii21rocsparse_complex_numIdEEEvT3_NS_24const_host_device_scalarIT4_EEPKT2_PKS3_PKS5_SD_lPS5_PiSB_iPS3_21rocsparse_index_base_20rocsparse_fill_mode_20rocsparse_diag_type_b,@function
_ZN9rocsparseL12csrsv_kernelILj1024ELj64ELb0Eii21rocsparse_complex_numIdEEEvT3_NS_24const_host_device_scalarIT4_EEPKT2_PKS3_PKS5_SD_lPS5_PiSB_iPS3_21rocsparse_index_base_20rocsparse_fill_mode_20rocsparse_diag_type_b: ; @_ZN9rocsparseL12csrsv_kernelILj1024ELj64ELb0Eii21rocsparse_complex_numIdEEEvT3_NS_24const_host_device_scalarIT4_EEPKT2_PKS3_PKS5_SD_lPS5_PiSB_iPS3_21rocsparse_index_base_20rocsparse_fill_mode_20rocsparse_diag_type_b
; %bb.0:
	s_add_u32 s6, s6, s9
	s_addc_u32 s7, s7, 0
	s_setreg_b32 hwreg(HW_REG_FLAT_SCR_LO), s6
	s_setreg_b32 hwreg(HW_REG_FLAT_SCR_HI), s7
	s_clause 0x1
	s_load_dwordx4 s[12:15], s[4:5], 0x68
	s_load_dwordx4 s[16:19], s[4:5], 0x8
	s_add_u32 s0, s0, s9
	s_addc_u32 s1, s1, 0
	s_mov_b64 s[6:7], src_private_base
	s_waitcnt lgkmcnt(0)
	s_bitcmp1_b32 s15, 0
	v_mov_b32_e32 v3, s17
	s_cselect_b32 s6, -1, 0
	v_mov_b32_e32 v4, s16
	s_and_b32 vcc_lo, s6, exec_lo
	s_cselect_b32 s6, 0, s16
	s_cselect_b32 s7, s7, s17
	v_mov_b32_e32 v1, s6
	v_mov_b32_e32 v2, s7
	buffer_store_dword v3, off, s[0:3], 0 offset:4
	buffer_store_dword v4, off, s[0:3], 0
	v_mov_b32_e32 v8, s18
	v_mov_b32_e32 v9, s19
	flat_load_dwordx2 v[1:2], v[1:2]
	s_cbranch_vccnz .LBB11_2
; %bb.1:
	v_mov_b32_e32 v3, s16
	v_mov_b32_e32 v4, s17
	flat_load_dwordx2 v[8:9], v[3:4] offset:8
.LBB11_2:
	s_load_dword s7, s[4:5], 0x0
	v_readfirstlane_b32 s6, v0
	s_lshr_b32 s15, s6, 6
	s_lshl_b32 s6, s8, 4
	s_add_i32 s6, s15, s6
	s_waitcnt lgkmcnt(0)
	s_cmp_ge_i32 s6, s7
	s_cbranch_scc1 .LBB11_47
; %bb.3:
	s_clause 0x1
	s_load_dword s7, s[4:5], 0x58
	s_load_dwordx2 s[8:9], s[4:5], 0x50
	v_mov_b32_e32 v6, 0
	v_mov_b32_e32 v4, 0
	v_and_b32_e32 v14, 63, v0
	v_mov_b32_e32 v7, 0
	v_mov_b32_e32 v5, 0
	s_mov_b32 s18, exec_lo
	s_waitcnt lgkmcnt(0)
	s_add_i32 s6, s6, s7
	s_ashr_i32 s7, s6, 31
	s_lshl_b64 s[6:7], s[6:7], 2
	s_add_u32 s6, s8, s6
	s_addc_u32 s7, s9, s7
	s_load_dword s20, s[6:7], 0x0
	s_load_dwordx2 s[8:9], s[4:5], 0x18
	s_waitcnt lgkmcnt(0)
	s_ashr_i32 s21, s20, 31
	s_lshl_b64 s[6:7], s[20:21], 2
	s_add_u32 s16, s8, s6
	s_addc_u32 s17, s9, s7
	s_load_dwordx4 s[8:11], s[4:5], 0x40
	s_load_dwordx2 s[16:17], s[16:17], 0x0
	v_cmpx_eq_u32_e32 0, v14
	s_cbranch_execz .LBB11_5
; %bb.4:
	s_load_dwordx4 s[24:27], s[4:5], 0x30
	s_waitcnt lgkmcnt(0)
	s_mul_i32 s19, s26, s21
	s_mul_hi_u32 s22, s26, s20
	s_mul_i32 s23, s27, s20
	s_add_i32 s19, s22, s19
	s_mul_i32 s22, s26, s20
	s_add_i32 s23, s19, s23
	s_lshl_b64 s[22:23], s[22:23], 4
	s_add_u32 s22, s24, s22
	s_addc_u32 s23, s25, s23
	s_load_dwordx4 s[24:27], s[22:23], 0x0
	s_waitcnt vmcnt(0) lgkmcnt(0)
	v_mul_f64 v[3:4], s[26:27], -v[8:9]
	v_mul_f64 v[10:11], v[1:2], s[26:27]
	v_fma_f64 v[6:7], v[1:2], s[24:25], v[3:4]
	v_fma_f64 v[4:5], v[8:9], s[24:25], v[10:11]
.LBB11_5:
	s_or_b32 exec_lo, exec_lo, s18
	v_subrev_nc_u32_e32 v0, s12, v14
	s_waitcnt lgkmcnt(0)
	s_sub_i32 s25, s17, s12
	s_mov_b32 s24, exec_lo
	s_waitcnt vmcnt(0)
	v_add_nc_u32_e32 v8, s16, v0
	v_cmpx_gt_i32_e64 s25, v8
	s_cbranch_execz .LBB11_43
; %bb.6:
	s_clause 0x1
	s_load_dwordx2 s[22:23], s[4:5], 0x60
	s_load_dwordx4 s[16:19], s[4:5], 0x20
	v_mov_b32_e32 v15, 0
	s_cmp_eq_u32 s14, 0
	s_mov_b32 s27, 0
	s_cselect_b32 s26, -1, 0
	s_add_i32 s28, s20, s12
	s_lshl_b32 s29, s15, 4
	s_branch .LBB11_8
.LBB11_7:                               ;   in Loop: Header=BB11_8 Depth=1
	s_or_b32 exec_lo, exec_lo, s30
	s_and_b32 s4, exec_lo, s4
	s_or_b32 s27, s4, s27
	s_andn2_b32 exec_lo, exec_lo, s27
	s_cbranch_execz .LBB11_42
.LBB11_8:                               ; =>This Loop Header: Depth=1
                                        ;     Child Loop BB11_32 Depth 2
	v_ashrrev_i32_e32 v9, 31, v8
	v_lshlrev_b64 v[0:1], 4, v[8:9]
	v_lshlrev_b64 v[9:10], 2, v[8:9]
	s_waitcnt lgkmcnt(0)
	v_add_co_u32 v0, vcc_lo, s18, v0
	v_add_co_ci_u32_e64 v1, null, s19, v1, vcc_lo
	v_add_co_u32 v9, vcc_lo, s16, v9
	v_add_co_ci_u32_e64 v10, null, s17, v10, vcc_lo
	global_load_dwordx4 v[0:3], v[0:1], off slc
	global_load_dword v9, v[9:10], off slc
	s_waitcnt vmcnt(1)
	v_cmp_eq_f64_e64 s4, 0, v[0:1]
	v_cmp_eq_f64_e64 s5, 0, v[2:3]
	s_waitcnt vmcnt(0)
	v_subrev_nc_u32_e32 v9, s12, v9
	v_cmp_eq_u32_e32 vcc_lo, s20, v9
	s_and_b32 s5, s4, s5
	v_cmp_ne_u32_e64 s4, s20, v9
	s_and_b32 s5, s5, vcc_lo
	s_and_b32 s5, s26, s5
	s_and_saveexec_b32 s30, s5
	s_cbranch_execz .LBB11_12
; %bb.9:                                ;   in Loop: Header=BB11_8 Depth=1
	v_mbcnt_lo_u32_b32 v0, exec_lo, 0
	s_mov_b32 s31, exec_lo
	v_cmpx_eq_u32_e32 0, v0
	s_cbranch_execz .LBB11_11
; %bb.10:                               ;   in Loop: Header=BB11_8 Depth=1
	v_mov_b32_e32 v0, s28
	global_atomic_smin v15, v0, s[22:23]
.LBB11_11:                              ;   in Loop: Header=BB11_8 Depth=1
	s_or_b32 exec_lo, exec_lo, s31
	v_mov_b32_e32 v2, 0
	v_mov_b32_e32 v0, 0
	;; [unrolled: 1-line block ×4, first 2 shown]
.LBB11_12:                              ;   in Loop: Header=BB11_8 Depth=1
	s_or_b32 exec_lo, exec_lo, s30
	s_mov_b32 s5, -1
	s_mov_b32 s30, 0
	s_cmp_lt_i32 s13, 1
	s_mov_b32 s31, 0
	s_cbranch_scc1 .LBB11_22
; %bb.13:                               ;   in Loop: Header=BB11_8 Depth=1
	s_cmp_eq_u32 s13, 1
	s_mov_b32 s31, -1
	s_cbranch_scc0 .LBB11_21
; %bb.14:                               ;   in Loop: Header=BB11_8 Depth=1
	s_mov_b32 s31, 0
	s_mov_b32 s33, exec_lo
	v_cmpx_le_i32_e64 s20, v9
	s_cbranch_execz .LBB11_20
; %bb.15:                               ;   in Loop: Header=BB11_8 Depth=1
	s_mov_b32 s31, -1
	s_and_saveexec_b32 s5, vcc_lo
	s_xor_b32 s5, exec_lo, s5
	s_cbranch_execz .LBB11_19
; %bb.16:                               ;   in Loop: Header=BB11_8 Depth=1
	s_andn2_b32 vcc_lo, exec_lo, s26
	s_cbranch_vccnz .LBB11_18
; %bb.17:                               ;   in Loop: Header=BB11_8 Depth=1
	v_mul_f64 v[10:11], v[2:3], v[2:3]
	v_fma_f64 v[10:11], v[0:1], v[0:1], v[10:11]
	v_div_scale_f64 v[12:13], null, v[10:11], v[10:11], 1.0
	v_div_scale_f64 v[20:21], vcc_lo, 1.0, v[10:11], 1.0
	v_rcp_f64_e32 v[16:17], v[12:13]
	v_fma_f64 v[18:19], -v[12:13], v[16:17], 1.0
	v_fma_f64 v[16:17], v[16:17], v[18:19], v[16:17]
	v_fma_f64 v[18:19], -v[12:13], v[16:17], 1.0
	v_fma_f64 v[16:17], v[16:17], v[18:19], v[16:17]
	v_mul_f64 v[18:19], v[20:21], v[16:17]
	v_fma_f64 v[12:13], -v[12:13], v[18:19], v[20:21]
	v_div_fmas_f64 v[12:13], v[12:13], v[16:17], v[18:19]
	v_fma_f64 v[16:17], v[2:3], 0, v[0:1]
	v_fma_f64 v[18:19], v[0:1], 0, -v[2:3]
	v_div_fixup_f64 v[12:13], v[12:13], v[10:11], 1.0
	v_mul_f64 v[10:11], v[16:17], v[12:13]
	v_mul_f64 v[12:13], v[18:19], v[12:13]
	v_mov_b32_e32 v16, s29
	ds_write_b128 v16, v[10:13]
.LBB11_18:                              ;   in Loop: Header=BB11_8 Depth=1
	s_xor_b32 s31, exec_lo, -1
.LBB11_19:                              ;   in Loop: Header=BB11_8 Depth=1
	s_or_b32 exec_lo, exec_lo, s5
	s_and_b32 s31, s31, exec_lo
.LBB11_20:                              ;   in Loop: Header=BB11_8 Depth=1
	s_or_b32 exec_lo, exec_lo, s33
.LBB11_21:                              ;   in Loop: Header=BB11_8 Depth=1
	s_mov_b32 s5, 0
.LBB11_22:                              ;   in Loop: Header=BB11_8 Depth=1
	s_and_b32 vcc_lo, exec_lo, s5
	s_mov_b32 s5, 4
	s_cbranch_vccz .LBB11_29
; %bb.23:                               ;   in Loop: Header=BB11_8 Depth=1
	s_cmp_eq_u32 s13, 0
	s_cbranch_scc1 .LBB11_25
; %bb.24:                               ;   in Loop: Header=BB11_8 Depth=1
	s_mov_b32 s31, -1
	s_branch .LBB11_28
.LBB11_25:                              ;   in Loop: Header=BB11_8 Depth=1
	s_mov_b32 s31, 0
	s_mov_b32 s5, exec_lo
	v_cmpx_ge_i32_e64 s20, v9
; %bb.26:                               ;   in Loop: Header=BB11_8 Depth=1
	s_mov_b32 s30, exec_lo
	s_and_b32 s31, s4, exec_lo
; %bb.27:                               ;   in Loop: Header=BB11_8 Depth=1
	s_or_b32 exec_lo, exec_lo, s5
.LBB11_28:                              ;   in Loop: Header=BB11_8 Depth=1
	s_mov_b32 s5, 2
.LBB11_29:                              ;   in Loop: Header=BB11_8 Depth=1
	v_mov_b32_e32 v13, v5
	v_mov_b32_e32 v11, v7
	;; [unrolled: 1-line block ×5, first 2 shown]
	s_and_saveexec_b32 s4, s31
	s_cbranch_execz .LBB11_34
; %bb.30:                               ;   in Loop: Header=BB11_8 Depth=1
	v_ashrrev_i32_e32 v10, 31, v9
	s_mov_b32 s5, exec_lo
	v_lshlrev_b64 v[11:12], 2, v[9:10]
	v_add_co_u32 v11, vcc_lo, s10, v11
	v_add_co_ci_u32_e64 v12, null, s11, v12, vcc_lo
	global_load_dword v13, v[11:12], off glc dlc
	s_waitcnt vmcnt(0)
	v_cmpx_eq_u32_e32 0, v13
	s_cbranch_execz .LBB11_33
; %bb.31:                               ;   in Loop: Header=BB11_8 Depth=1
	s_mov_b32 s31, 0
.LBB11_32:                              ;   Parent Loop BB11_8 Depth=1
                                        ; =>  This Inner Loop Header: Depth=2
	global_load_dword v13, v[11:12], off glc dlc
	s_waitcnt vmcnt(0)
	v_cmp_ne_u32_e32 vcc_lo, 0, v13
	s_or_b32 s31, vcc_lo, s31
	s_andn2_b32 exec_lo, exec_lo, s31
	s_cbranch_execnz .LBB11_32
.LBB11_33:                              ;   in Loop: Header=BB11_8 Depth=1
	s_or_b32 exec_lo, exec_lo, s5
	v_lshlrev_b64 v[9:10], 4, v[9:10]
	s_waitcnt lgkmcnt(0)
	s_waitcnt_vscnt null, 0x0
	buffer_gl1_inv
	buffer_gl0_inv
	s_andn2_b32 s30, s30, exec_lo
	v_add_co_u32 v9, vcc_lo, s8, v9
	v_add_co_ci_u32_e64 v10, null, s9, v10, vcc_lo
	global_load_dwordx4 v[10:13], v[9:10], off
	s_waitcnt vmcnt(0)
	v_fma_f64 v[16:17], -v[0:1], v[10:11], v[6:7]
	v_fma_f64 v[18:19], -v[2:3], v[10:11], v[4:5]
	v_fma_f64 v[10:11], v[2:3], v[12:13], v[16:17]
	v_fma_f64 v[12:13], -v[0:1], v[12:13], v[18:19]
	v_mov_b32_e32 v16, 0
.LBB11_34:                              ;   in Loop: Header=BB11_8 Depth=1
	s_or_b32 exec_lo, exec_lo, s4
	s_and_saveexec_b32 s4, s30
	s_cbranch_execz .LBB11_38
; %bb.35:                               ;   in Loop: Header=BB11_8 Depth=1
	s_andn2_b32 vcc_lo, exec_lo, s26
	s_cbranch_vccnz .LBB11_37
; %bb.36:                               ;   in Loop: Header=BB11_8 Depth=1
	v_mul_f64 v[9:10], v[2:3], v[2:3]
	v_fma_f64 v[9:10], v[0:1], v[0:1], v[9:10]
	v_div_scale_f64 v[11:12], null, v[9:10], v[9:10], 1.0
	v_div_scale_f64 v[20:21], vcc_lo, 1.0, v[9:10], 1.0
	v_rcp_f64_e32 v[16:17], v[11:12]
	v_fma_f64 v[18:19], -v[11:12], v[16:17], 1.0
	v_fma_f64 v[16:17], v[16:17], v[18:19], v[16:17]
	v_fma_f64 v[18:19], -v[11:12], v[16:17], 1.0
	v_fma_f64 v[16:17], v[16:17], v[18:19], v[16:17]
	v_mul_f64 v[18:19], v[20:21], v[16:17]
	v_fma_f64 v[11:12], -v[11:12], v[18:19], v[20:21]
	v_div_fmas_f64 v[11:12], v[11:12], v[16:17], v[18:19]
	v_fma_f64 v[16:17], v[2:3], 0, v[0:1]
	v_fma_f64 v[2:3], v[0:1], 0, -v[2:3]
	v_div_fixup_f64 v[9:10], v[11:12], v[9:10], 1.0
	v_mul_f64 v[0:1], v[16:17], v[9:10]
	v_mul_f64 v[2:3], v[2:3], v[9:10]
	v_mov_b32_e32 v9, s29
	ds_write_b128 v9, v[0:3]
.LBB11_37:                              ;   in Loop: Header=BB11_8 Depth=1
	v_mov_b32_e32 v11, v7
	v_mov_b32_e32 v13, v5
	v_mov_b32_e32 v16, 2
	v_mov_b32_e32 v10, v6
	v_mov_b32_e32 v12, v4
.LBB11_38:                              ;   in Loop: Header=BB11_8 Depth=1
	s_or_b32 exec_lo, exec_lo, s4
	v_mov_b32_e32 v4, v12
	v_mov_b32_e32 v6, v10
	;; [unrolled: 1-line block ×4, first 2 shown]
	s_mov_b32 s4, -1
	s_mov_b32 s5, -1
	s_mov_b32 s30, exec_lo
	v_cmpx_gt_i32_e32 4, v16
; %bb.39:                               ;   in Loop: Header=BB11_8 Depth=1
	v_cmp_eq_u32_e32 vcc_lo, 0, v16
	s_orn2_b32 s5, vcc_lo, exec_lo
; %bb.40:                               ;   in Loop: Header=BB11_8 Depth=1
	s_or_b32 exec_lo, exec_lo, s30
	s_and_saveexec_b32 s30, s5
	s_cbranch_execz .LBB11_7
; %bb.41:                               ;   in Loop: Header=BB11_8 Depth=1
	v_add_nc_u32_e32 v8, 64, v8
	v_cmp_le_i32_e32 vcc_lo, s25, v8
	s_orn2_b32 s4, vcc_lo, exec_lo
	s_branch .LBB11_7
.LBB11_42:
	s_or_b32 exec_lo, exec_lo, s27
.LBB11_43:
	s_or_b32 exec_lo, exec_lo, s24
	v_mbcnt_lo_u32_b32 v8, -1, 0
	s_cmp_lg_u32 s14, 0
	v_or_b32_e32 v0, 32, v8
	v_cmp_gt_i32_e32 vcc_lo, 32, v0
	v_cndmask_b32_e32 v0, v8, v0, vcc_lo
	v_lshlrev_b32_e32 v3, 2, v0
	ds_bpermute_b32 v0, v3, v6
	ds_bpermute_b32 v1, v3, v7
	;; [unrolled: 1-line block ×4, first 2 shown]
	s_waitcnt lgkmcnt(2)
	v_add_f64 v[0:1], v[6:7], v[0:1]
	s_waitcnt lgkmcnt(0)
	v_add_f64 v[2:3], v[4:5], v[2:3]
	v_xor_b32_e32 v4, 16, v8
	v_cmp_gt_i32_e32 vcc_lo, 32, v4
	v_cndmask_b32_e32 v4, v8, v4, vcc_lo
	v_lshlrev_b32_e32 v7, 2, v4
	ds_bpermute_b32 v4, v7, v0
	ds_bpermute_b32 v5, v7, v1
	ds_bpermute_b32 v6, v7, v2
	ds_bpermute_b32 v7, v7, v3
	s_waitcnt lgkmcnt(2)
	v_add_f64 v[0:1], v[0:1], v[4:5]
	v_xor_b32_e32 v4, 8, v8
	s_waitcnt lgkmcnt(0)
	v_add_f64 v[2:3], v[2:3], v[6:7]
	v_cmp_gt_i32_e32 vcc_lo, 32, v4
	v_cndmask_b32_e32 v4, v8, v4, vcc_lo
	v_lshlrev_b32_e32 v7, 2, v4
	ds_bpermute_b32 v4, v7, v0
	ds_bpermute_b32 v5, v7, v1
	ds_bpermute_b32 v6, v7, v2
	ds_bpermute_b32 v7, v7, v3
	s_waitcnt lgkmcnt(2)
	v_add_f64 v[0:1], v[0:1], v[4:5]
	v_xor_b32_e32 v4, 4, v8
	s_waitcnt lgkmcnt(0)
	v_add_f64 v[2:3], v[2:3], v[6:7]
	;; [unrolled: 12-line block ×4, first 2 shown]
	v_cmp_gt_i32_e32 vcc_lo, 32, v4
	v_cndmask_b32_e32 v4, v8, v4, vcc_lo
	v_lshlrev_b32_e32 v7, 2, v4
	ds_bpermute_b32 v4, v7, v0
	ds_bpermute_b32 v5, v7, v1
	;; [unrolled: 1-line block ×4, first 2 shown]
	s_waitcnt lgkmcnt(2)
	v_add_f64 v[0:1], v[0:1], v[4:5]
	s_waitcnt lgkmcnt(0)
	v_add_f64 v[2:3], v[2:3], v[6:7]
	s_cbranch_scc1 .LBB11_45
; %bb.44:
	s_lshl_b32 s4, s15, 4
	s_waitcnt_vscnt null, 0x0
	buffer_gl0_inv
	v_mov_b32_e32 v4, s4
	ds_read_b128 v[4:7], v4
	s_waitcnt lgkmcnt(0)
	v_mul_f64 v[8:9], v[6:7], -v[2:3]
	v_mul_f64 v[6:7], v[0:1], v[6:7]
	v_fma_f64 v[0:1], v[0:1], v[4:5], v[8:9]
	v_fma_f64 v[2:3], v[2:3], v[4:5], v[6:7]
.LBB11_45:
	s_mov_b32 s4, exec_lo
	v_cmpx_eq_u32_e32 63, v14
	s_cbranch_execz .LBB11_47
; %bb.46:
	s_lshl_b64 s[4:5], s[20:21], 4
	v_mov_b32_e32 v4, 0
	s_add_u32 s4, s8, s4
	v_mov_b32_e32 v5, 1
	s_addc_u32 s5, s9, s5
	s_add_u32 s6, s10, s6
	s_addc_u32 s7, s11, s7
	global_store_dwordx4 v4, v[0:3], s[4:5] glc slc
	s_waitcnt_vscnt null, 0x0
	global_store_dword v4, v5, s[6:7]
.LBB11_47:
	s_endpgm
	.section	.rodata,"a",@progbits
	.p2align	6, 0x0
	.amdhsa_kernel _ZN9rocsparseL12csrsv_kernelILj1024ELj64ELb0Eii21rocsparse_complex_numIdEEEvT3_NS_24const_host_device_scalarIT4_EEPKT2_PKS3_PKS5_SD_lPS5_PiSB_iPS3_21rocsparse_index_base_20rocsparse_fill_mode_20rocsparse_diag_type_b
		.amdhsa_group_segment_fixed_size 256
		.amdhsa_private_segment_fixed_size 16
		.amdhsa_kernarg_size 120
		.amdhsa_user_sgpr_count 8
		.amdhsa_user_sgpr_private_segment_buffer 1
		.amdhsa_user_sgpr_dispatch_ptr 0
		.amdhsa_user_sgpr_queue_ptr 0
		.amdhsa_user_sgpr_kernarg_segment_ptr 1
		.amdhsa_user_sgpr_dispatch_id 0
		.amdhsa_user_sgpr_flat_scratch_init 1
		.amdhsa_user_sgpr_private_segment_size 0
		.amdhsa_wavefront_size32 1
		.amdhsa_uses_dynamic_stack 0
		.amdhsa_system_sgpr_private_segment_wavefront_offset 1
		.amdhsa_system_sgpr_workgroup_id_x 1
		.amdhsa_system_sgpr_workgroup_id_y 0
		.amdhsa_system_sgpr_workgroup_id_z 0
		.amdhsa_system_sgpr_workgroup_info 0
		.amdhsa_system_vgpr_workitem_id 0
		.amdhsa_next_free_vgpr 22
		.amdhsa_next_free_sgpr 34
		.amdhsa_reserve_vcc 1
		.amdhsa_reserve_flat_scratch 1
		.amdhsa_float_round_mode_32 0
		.amdhsa_float_round_mode_16_64 0
		.amdhsa_float_denorm_mode_32 3
		.amdhsa_float_denorm_mode_16_64 3
		.amdhsa_dx10_clamp 1
		.amdhsa_ieee_mode 1
		.amdhsa_fp16_overflow 0
		.amdhsa_workgroup_processor_mode 1
		.amdhsa_memory_ordered 1
		.amdhsa_forward_progress 1
		.amdhsa_shared_vgpr_count 0
		.amdhsa_exception_fp_ieee_invalid_op 0
		.amdhsa_exception_fp_denorm_src 0
		.amdhsa_exception_fp_ieee_div_zero 0
		.amdhsa_exception_fp_ieee_overflow 0
		.amdhsa_exception_fp_ieee_underflow 0
		.amdhsa_exception_fp_ieee_inexact 0
		.amdhsa_exception_int_div_zero 0
	.end_amdhsa_kernel
	.section	.text._ZN9rocsparseL12csrsv_kernelILj1024ELj64ELb0Eii21rocsparse_complex_numIdEEEvT3_NS_24const_host_device_scalarIT4_EEPKT2_PKS3_PKS5_SD_lPS5_PiSB_iPS3_21rocsparse_index_base_20rocsparse_fill_mode_20rocsparse_diag_type_b,"axG",@progbits,_ZN9rocsparseL12csrsv_kernelILj1024ELj64ELb0Eii21rocsparse_complex_numIdEEEvT3_NS_24const_host_device_scalarIT4_EEPKT2_PKS3_PKS5_SD_lPS5_PiSB_iPS3_21rocsparse_index_base_20rocsparse_fill_mode_20rocsparse_diag_type_b,comdat
.Lfunc_end11:
	.size	_ZN9rocsparseL12csrsv_kernelILj1024ELj64ELb0Eii21rocsparse_complex_numIdEEEvT3_NS_24const_host_device_scalarIT4_EEPKT2_PKS3_PKS5_SD_lPS5_PiSB_iPS3_21rocsparse_index_base_20rocsparse_fill_mode_20rocsparse_diag_type_b, .Lfunc_end11-_ZN9rocsparseL12csrsv_kernelILj1024ELj64ELb0Eii21rocsparse_complex_numIdEEEvT3_NS_24const_host_device_scalarIT4_EEPKT2_PKS3_PKS5_SD_lPS5_PiSB_iPS3_21rocsparse_index_base_20rocsparse_fill_mode_20rocsparse_diag_type_b
                                        ; -- End function
	.set _ZN9rocsparseL12csrsv_kernelILj1024ELj64ELb0Eii21rocsparse_complex_numIdEEEvT3_NS_24const_host_device_scalarIT4_EEPKT2_PKS3_PKS5_SD_lPS5_PiSB_iPS3_21rocsparse_index_base_20rocsparse_fill_mode_20rocsparse_diag_type_b.num_vgpr, 22
	.set _ZN9rocsparseL12csrsv_kernelILj1024ELj64ELb0Eii21rocsparse_complex_numIdEEEvT3_NS_24const_host_device_scalarIT4_EEPKT2_PKS3_PKS5_SD_lPS5_PiSB_iPS3_21rocsparse_index_base_20rocsparse_fill_mode_20rocsparse_diag_type_b.num_agpr, 0
	.set _ZN9rocsparseL12csrsv_kernelILj1024ELj64ELb0Eii21rocsparse_complex_numIdEEEvT3_NS_24const_host_device_scalarIT4_EEPKT2_PKS3_PKS5_SD_lPS5_PiSB_iPS3_21rocsparse_index_base_20rocsparse_fill_mode_20rocsparse_diag_type_b.numbered_sgpr, 34
	.set _ZN9rocsparseL12csrsv_kernelILj1024ELj64ELb0Eii21rocsparse_complex_numIdEEEvT3_NS_24const_host_device_scalarIT4_EEPKT2_PKS3_PKS5_SD_lPS5_PiSB_iPS3_21rocsparse_index_base_20rocsparse_fill_mode_20rocsparse_diag_type_b.num_named_barrier, 0
	.set _ZN9rocsparseL12csrsv_kernelILj1024ELj64ELb0Eii21rocsparse_complex_numIdEEEvT3_NS_24const_host_device_scalarIT4_EEPKT2_PKS3_PKS5_SD_lPS5_PiSB_iPS3_21rocsparse_index_base_20rocsparse_fill_mode_20rocsparse_diag_type_b.private_seg_size, 16
	.set _ZN9rocsparseL12csrsv_kernelILj1024ELj64ELb0Eii21rocsparse_complex_numIdEEEvT3_NS_24const_host_device_scalarIT4_EEPKT2_PKS3_PKS5_SD_lPS5_PiSB_iPS3_21rocsparse_index_base_20rocsparse_fill_mode_20rocsparse_diag_type_b.uses_vcc, 1
	.set _ZN9rocsparseL12csrsv_kernelILj1024ELj64ELb0Eii21rocsparse_complex_numIdEEEvT3_NS_24const_host_device_scalarIT4_EEPKT2_PKS3_PKS5_SD_lPS5_PiSB_iPS3_21rocsparse_index_base_20rocsparse_fill_mode_20rocsparse_diag_type_b.uses_flat_scratch, 1
	.set _ZN9rocsparseL12csrsv_kernelILj1024ELj64ELb0Eii21rocsparse_complex_numIdEEEvT3_NS_24const_host_device_scalarIT4_EEPKT2_PKS3_PKS5_SD_lPS5_PiSB_iPS3_21rocsparse_index_base_20rocsparse_fill_mode_20rocsparse_diag_type_b.has_dyn_sized_stack, 0
	.set _ZN9rocsparseL12csrsv_kernelILj1024ELj64ELb0Eii21rocsparse_complex_numIdEEEvT3_NS_24const_host_device_scalarIT4_EEPKT2_PKS3_PKS5_SD_lPS5_PiSB_iPS3_21rocsparse_index_base_20rocsparse_fill_mode_20rocsparse_diag_type_b.has_recursion, 0
	.set _ZN9rocsparseL12csrsv_kernelILj1024ELj64ELb0Eii21rocsparse_complex_numIdEEEvT3_NS_24const_host_device_scalarIT4_EEPKT2_PKS3_PKS5_SD_lPS5_PiSB_iPS3_21rocsparse_index_base_20rocsparse_fill_mode_20rocsparse_diag_type_b.has_indirect_call, 0
	.section	.AMDGPU.csdata,"",@progbits
; Kernel info:
; codeLenInByte = 2052
; TotalNumSgprs: 36
; NumVgprs: 22
; ScratchSize: 16
; MemoryBound: 0
; FloatMode: 240
; IeeeMode: 1
; LDSByteSize: 256 bytes/workgroup (compile time only)
; SGPRBlocks: 0
; VGPRBlocks: 2
; NumSGPRsForWavesPerEU: 36
; NumVGPRsForWavesPerEU: 22
; Occupancy: 16
; WaveLimiterHint : 1
; COMPUTE_PGM_RSRC2:SCRATCH_EN: 1
; COMPUTE_PGM_RSRC2:USER_SGPR: 8
; COMPUTE_PGM_RSRC2:TRAP_HANDLER: 0
; COMPUTE_PGM_RSRC2:TGID_X_EN: 1
; COMPUTE_PGM_RSRC2:TGID_Y_EN: 0
; COMPUTE_PGM_RSRC2:TGID_Z_EN: 0
; COMPUTE_PGM_RSRC2:TIDIG_COMP_CNT: 0
	.section	.text._ZN9rocsparseL12csrsv_kernelILj1024ELj64ELb1ElifEEvT3_NS_24const_host_device_scalarIT4_EEPKT2_PKS1_PKS3_SB_lPS3_PiS9_iPS1_21rocsparse_index_base_20rocsparse_fill_mode_20rocsparse_diag_type_b,"axG",@progbits,_ZN9rocsparseL12csrsv_kernelILj1024ELj64ELb1ElifEEvT3_NS_24const_host_device_scalarIT4_EEPKT2_PKS1_PKS3_SB_lPS3_PiS9_iPS1_21rocsparse_index_base_20rocsparse_fill_mode_20rocsparse_diag_type_b,comdat
	.globl	_ZN9rocsparseL12csrsv_kernelILj1024ELj64ELb1ElifEEvT3_NS_24const_host_device_scalarIT4_EEPKT2_PKS1_PKS3_SB_lPS3_PiS9_iPS1_21rocsparse_index_base_20rocsparse_fill_mode_20rocsparse_diag_type_b ; -- Begin function _ZN9rocsparseL12csrsv_kernelILj1024ELj64ELb1ElifEEvT3_NS_24const_host_device_scalarIT4_EEPKT2_PKS1_PKS3_SB_lPS3_PiS9_iPS1_21rocsparse_index_base_20rocsparse_fill_mode_20rocsparse_diag_type_b
	.p2align	8
	.type	_ZN9rocsparseL12csrsv_kernelILj1024ELj64ELb1ElifEEvT3_NS_24const_host_device_scalarIT4_EEPKT2_PKS1_PKS3_SB_lPS3_PiS9_iPS1_21rocsparse_index_base_20rocsparse_fill_mode_20rocsparse_diag_type_b,@function
_ZN9rocsparseL12csrsv_kernelILj1024ELj64ELb1ElifEEvT3_NS_24const_host_device_scalarIT4_EEPKT2_PKS1_PKS3_SB_lPS3_PiS9_iPS1_21rocsparse_index_base_20rocsparse_fill_mode_20rocsparse_diag_type_b: ; @_ZN9rocsparseL12csrsv_kernelILj1024ELj64ELb1ElifEEvT3_NS_24const_host_device_scalarIT4_EEPKT2_PKS1_PKS3_SB_lPS3_PiS9_iPS1_21rocsparse_index_base_20rocsparse_fill_mode_20rocsparse_diag_type_b
; %bb.0:
	s_clause 0x1
	s_load_dwordx4 s[8:11], s[4:5], 0x60
	s_load_dwordx2 s[18:19], s[4:5], 0x8
	s_waitcnt lgkmcnt(0)
	s_bitcmp1_b32 s11, 0
	s_cselect_b32 s0, -1, 0
	s_and_b32 vcc_lo, exec_lo, s0
	s_cbranch_vccnz .LBB12_2
; %bb.1:
	s_load_dword s18, s[18:19], 0x0
.LBB12_2:
	s_load_dword s1, s[4:5], 0x0
	v_readfirstlane_b32 s0, v0
	s_lshr_b32 s11, s0, 6
	s_lshl_b32 s0, s6, 4
	s_add_i32 s0, s11, s0
	s_waitcnt lgkmcnt(0)
	s_cmp_ge_i32 s0, s1
	s_cbranch_scc1 .LBB12_49
; %bb.3:
	s_clause 0x2
	s_load_dword s1, s[4:5], 0x50
	s_load_dwordx2 s[2:3], s[4:5], 0x48
	s_load_dwordx4 s[12:15], s[4:5], 0x38
	v_and_b32_e32 v6, 63, v0
	v_mov_b32_e32 v7, 0
	s_mov_b32 s6, exec_lo
	s_waitcnt lgkmcnt(0)
	s_add_i32 s0, s0, s1
	s_ashr_i32 s1, s0, 31
	s_lshl_b64 s[0:1], s[0:1], 2
	s_add_u32 s0, s2, s0
	s_addc_u32 s1, s3, s1
	s_load_dword s16, s[0:1], 0x0
	s_load_dwordx2 s[0:1], s[4:5], 0x10
	s_waitcnt lgkmcnt(0)
	s_ashr_i32 s17, s16, 31
	s_lshl_b64 s[2:3], s[16:17], 3
	s_add_u32 s0, s0, s2
	s_addc_u32 s1, s1, s3
	s_load_dwordx4 s[0:3], s[0:1], 0x0
	v_cmpx_eq_u32_e32 0, v6
	s_cbranch_execz .LBB12_5
; %bb.4:
	s_load_dwordx4 s[20:23], s[4:5], 0x28
	s_waitcnt lgkmcnt(0)
	s_mul_i32 s7, s22, s17
	s_mul_hi_u32 s19, s22, s16
	s_mul_i32 s23, s23, s16
	s_add_i32 s7, s19, s7
	s_mul_i32 s22, s22, s16
	s_add_i32 s23, s7, s23
	s_lshl_b64 s[22:23], s[22:23], 2
	s_add_u32 s20, s20, s22
	s_addc_u32 s21, s21, s23
	s_load_dword s7, s[20:21], 0x0
	s_waitcnt lgkmcnt(0)
	v_mul_f32_e64 v7, s18, s7
.LBB12_5:
	s_or_b32 exec_lo, exec_lo, s6
	v_sub_co_u32 v0, s6, v6, s8
	v_sub_co_ci_u32_e64 v1, null, 0, 0, s6
	s_waitcnt lgkmcnt(0)
	s_sub_u32 s2, s2, s8
	v_add_co_u32 v0, vcc_lo, s0, v0
	v_add_co_ci_u32_e64 v1, null, s1, v1, vcc_lo
	s_subb_u32 s3, s3, 0
	s_mov_b32 s20, exec_lo
	v_cmpx_gt_i64_e64 s[2:3], v[0:1]
	s_cbranch_execz .LBB12_45
; %bb.6:
	s_clause 0x1
	s_load_dwordx2 s[18:19], s[4:5], 0x58
	s_load_dwordx4 s[4:7], s[4:5], 0x18
	v_mov_b32_e32 v8, 0
	s_cmp_eq_u32 s10, 0
	s_mov_b32 s22, 0
	s_cselect_b32 s21, -1, 0
	s_add_i32 s23, s16, s8
	s_lshl_b32 s24, s11, 2
	s_branch .LBB12_8
.LBB12_7:                               ;   in Loop: Header=BB12_8 Depth=1
	s_or_b32 exec_lo, exec_lo, s1
	s_and_b32 s0, exec_lo, s0
	s_or_b32 s22, s0, s22
	s_andn2_b32 exec_lo, exec_lo, s22
	s_cbranch_execz .LBB12_44
.LBB12_8:                               ; =>This Loop Header: Depth=1
                                        ;     Child Loop BB12_26 Depth 2
                                        ;       Child Loop BB12_27 Depth 3
	v_lshlrev_b64 v[2:3], 2, v[0:1]
	s_waitcnt lgkmcnt(0)
	v_add_co_u32 v4, vcc_lo, s4, v2
	v_add_co_ci_u32_e64 v5, null, s5, v3, vcc_lo
	v_add_co_u32 v2, vcc_lo, s6, v2
	v_add_co_ci_u32_e64 v3, null, s7, v3, vcc_lo
	global_load_dword v4, v[4:5], off slc
	global_load_dword v9, v[2:3], off slc
	s_waitcnt vmcnt(1)
	v_subrev_nc_u32_e32 v2, s8, v4
	s_waitcnt vmcnt(0)
	v_cmp_eq_f32_e64 s1, 0, v9
	v_cmp_eq_u32_e32 vcc_lo, s16, v2
	v_cmp_ne_u32_e64 s0, s16, v2
	s_and_b32 s25, s21, vcc_lo
	s_and_b32 s1, s1, s25
	s_and_saveexec_b32 s25, s1
	s_cbranch_execz .LBB12_12
; %bb.9:                                ;   in Loop: Header=BB12_8 Depth=1
	v_mbcnt_lo_u32_b32 v3, exec_lo, 0
	s_mov_b32 s26, exec_lo
	v_cmpx_eq_u32_e32 0, v3
	s_cbranch_execz .LBB12_11
; %bb.10:                               ;   in Loop: Header=BB12_8 Depth=1
	v_mov_b32_e32 v3, s23
	global_atomic_smin v8, v3, s[18:19]
.LBB12_11:                              ;   in Loop: Header=BB12_8 Depth=1
	s_or_b32 exec_lo, exec_lo, s26
	v_mov_b32_e32 v9, 1.0
.LBB12_12:                              ;   in Loop: Header=BB12_8 Depth=1
	s_or_b32 exec_lo, exec_lo, s25
	s_mov_b32 s1, -1
	s_mov_b32 s25, 0
	s_cmp_lt_i32 s9, 1
	s_mov_b32 s26, 0
	s_cbranch_scc1 .LBB12_28
; %bb.13:                               ;   in Loop: Header=BB12_8 Depth=1
	s_cmp_eq_u32 s9, 1
	s_mov_b32 s26, -1
	s_cbranch_scc0 .LBB12_21
; %bb.14:                               ;   in Loop: Header=BB12_8 Depth=1
	s_mov_b32 s26, 0
	s_mov_b32 s27, exec_lo
	v_cmpx_le_i32_e64 s16, v2
	s_cbranch_execz .LBB12_20
; %bb.15:                               ;   in Loop: Header=BB12_8 Depth=1
	s_mov_b32 s26, -1
	s_and_saveexec_b32 s1, vcc_lo
	s_xor_b32 s1, exec_lo, s1
	s_cbranch_execz .LBB12_19
; %bb.16:                               ;   in Loop: Header=BB12_8 Depth=1
	s_andn2_b32 vcc_lo, exec_lo, s21
	s_cbranch_vccnz .LBB12_18
; %bb.17:                               ;   in Loop: Header=BB12_8 Depth=1
	v_div_scale_f32 v3, null, v9, v9, 1.0
	v_div_scale_f32 v10, vcc_lo, 1.0, v9, 1.0
	v_rcp_f32_e32 v4, v3
	v_fma_f32 v5, -v3, v4, 1.0
	v_fmac_f32_e32 v4, v5, v4
	v_mul_f32_e32 v5, v10, v4
	v_fma_f32 v11, -v3, v5, v10
	v_fmac_f32_e32 v5, v11, v4
	v_fma_f32 v3, -v3, v5, v10
	v_div_fmas_f32 v3, v3, v4, v5
	v_mov_b32_e32 v4, s24
	v_div_fixup_f32 v3, v3, v9, 1.0
	ds_write_b32 v4, v3
.LBB12_18:                              ;   in Loop: Header=BB12_8 Depth=1
	s_xor_b32 s26, exec_lo, -1
.LBB12_19:                              ;   in Loop: Header=BB12_8 Depth=1
	s_or_b32 exec_lo, exec_lo, s1
	s_and_b32 s26, s26, exec_lo
.LBB12_20:                              ;   in Loop: Header=BB12_8 Depth=1
	s_or_b32 exec_lo, exec_lo, s27
.LBB12_21:                              ;   in Loop: Header=BB12_8 Depth=1
	s_mov_b32 s1, 4
.LBB12_22:                              ;   in Loop: Header=BB12_8 Depth=1
	v_mov_b32_e32 v3, s1
	v_mov_b32_e32 v4, v7
	s_and_saveexec_b32 s0, s26
	s_cbranch_execz .LBB12_36
.LBB12_23:                              ;   in Loop: Header=BB12_8 Depth=1
	v_ashrrev_i32_e32 v3, 31, v2
	s_mov_b32 s1, exec_lo
	v_lshlrev_b64 v[2:3], 2, v[2:3]
	v_add_co_u32 v4, vcc_lo, s14, v2
	v_add_co_ci_u32_e64 v5, null, s15, v3, vcc_lo
	global_load_dword v10, v[4:5], off glc dlc
	s_waitcnt vmcnt(0)
	v_cmpx_eq_u32_e32 0, v10
	s_cbranch_execz .LBB12_31
; %bb.24:                               ;   in Loop: Header=BB12_8 Depth=1
	s_mov_b32 s26, 0
	s_mov_b32 s27, 0
	s_branch .LBB12_26
	.p2align	6
.LBB12_25:                              ;   in Loop: Header=BB12_26 Depth=2
	global_load_dword v10, v[4:5], off glc dlc
	s_cmpk_lt_u32 s27, 0xf43
	s_cselect_b32 s28, -1, 0
	s_cmp_lg_u32 s28, 0
	s_addc_u32 s27, s27, 0
	s_waitcnt vmcnt(0)
	v_cmp_ne_u32_e32 vcc_lo, 0, v10
	s_or_b32 s26, vcc_lo, s26
	s_andn2_b32 exec_lo, exec_lo, s26
	s_cbranch_execz .LBB12_31
.LBB12_26:                              ;   Parent Loop BB12_8 Depth=1
                                        ; =>  This Loop Header: Depth=2
                                        ;       Child Loop BB12_27 Depth 3
	s_cmp_eq_u32 s27, 0
	s_mov_b32 s28, s27
	s_cbranch_scc1 .LBB12_25
.LBB12_27:                              ;   Parent Loop BB12_8 Depth=1
                                        ;     Parent Loop BB12_26 Depth=2
                                        ; =>    This Inner Loop Header: Depth=3
	s_add_i32 s28, s28, -1
	s_sleep 1
	s_cmp_eq_u32 s28, 0
	s_cbranch_scc0 .LBB12_27
	s_branch .LBB12_25
.LBB12_28:                              ;   in Loop: Header=BB12_8 Depth=1
	s_and_b32 vcc_lo, exec_lo, s1
	s_mov_b32 s1, 4
	s_cbranch_vccz .LBB12_22
; %bb.29:                               ;   in Loop: Header=BB12_8 Depth=1
	s_cmp_eq_u32 s9, 0
	s_cbranch_scc1 .LBB12_32
; %bb.30:                               ;   in Loop: Header=BB12_8 Depth=1
	s_mov_b32 s26, -1
	s_branch .LBB12_35
.LBB12_31:                              ;   in Loop: Header=BB12_8 Depth=1
	s_or_b32 exec_lo, exec_lo, s1
	v_add_co_u32 v2, vcc_lo, s12, v2
	v_add_co_ci_u32_e64 v3, null, s13, v3, vcc_lo
	s_waitcnt lgkmcnt(0)
	s_waitcnt_vscnt null, 0x0
	buffer_gl1_inv
	buffer_gl0_inv
	s_andn2_b32 s25, s25, exec_lo
	global_load_dword v2, v[2:3], off
	v_mov_b32_e32 v3, 0
	s_waitcnt vmcnt(0)
	v_fma_f32 v4, -v9, v2, v7
	s_or_b32 exec_lo, exec_lo, s0
	s_and_saveexec_b32 s0, s25
	s_cbranch_execz .LBB12_40
	s_branch .LBB12_37
.LBB12_32:                              ;   in Loop: Header=BB12_8 Depth=1
	s_mov_b32 s26, 0
	s_mov_b32 s1, exec_lo
	v_cmpx_ge_i32_e64 s16, v2
; %bb.33:                               ;   in Loop: Header=BB12_8 Depth=1
	s_mov_b32 s25, exec_lo
	s_and_b32 s26, s0, exec_lo
; %bb.34:                               ;   in Loop: Header=BB12_8 Depth=1
	s_or_b32 exec_lo, exec_lo, s1
.LBB12_35:                              ;   in Loop: Header=BB12_8 Depth=1
	s_mov_b32 s1, 2
	v_mov_b32_e32 v3, s1
	v_mov_b32_e32 v4, v7
	s_and_saveexec_b32 s0, s26
	s_cbranch_execnz .LBB12_23
.LBB12_36:                              ;   in Loop: Header=BB12_8 Depth=1
	s_or_b32 exec_lo, exec_lo, s0
	s_and_saveexec_b32 s0, s25
	s_cbranch_execz .LBB12_40
.LBB12_37:                              ;   in Loop: Header=BB12_8 Depth=1
	s_andn2_b32 vcc_lo, exec_lo, s21
	s_cbranch_vccnz .LBB12_39
; %bb.38:                               ;   in Loop: Header=BB12_8 Depth=1
	v_div_scale_f32 v2, null, v9, v9, 1.0
	v_div_scale_f32 v5, vcc_lo, 1.0, v9, 1.0
	v_rcp_f32_e32 v3, v2
	v_fma_f32 v4, -v2, v3, 1.0
	v_fmac_f32_e32 v3, v4, v3
	v_mul_f32_e32 v4, v5, v3
	v_fma_f32 v10, -v2, v4, v5
	v_fmac_f32_e32 v4, v10, v3
	v_fma_f32 v2, -v2, v4, v5
	v_div_fmas_f32 v2, v2, v3, v4
	v_mov_b32_e32 v3, s24
	v_div_fixup_f32 v2, v2, v9, 1.0
	ds_write_b32 v3, v2
.LBB12_39:                              ;   in Loop: Header=BB12_8 Depth=1
	v_mov_b32_e32 v3, 2
	v_mov_b32_e32 v4, v7
.LBB12_40:                              ;   in Loop: Header=BB12_8 Depth=1
	s_or_b32 exec_lo, exec_lo, s0
	v_mov_b32_e32 v7, v4
	s_mov_b32 s0, -1
	s_mov_b32 s25, -1
	s_mov_b32 s1, exec_lo
	v_cmpx_gt_i32_e32 4, v3
; %bb.41:                               ;   in Loop: Header=BB12_8 Depth=1
	v_cmp_eq_u32_e32 vcc_lo, 0, v3
	s_orn2_b32 s25, vcc_lo, exec_lo
; %bb.42:                               ;   in Loop: Header=BB12_8 Depth=1
	s_or_b32 exec_lo, exec_lo, s1
	s_and_saveexec_b32 s1, s25
	s_cbranch_execz .LBB12_7
; %bb.43:                               ;   in Loop: Header=BB12_8 Depth=1
	v_add_co_u32 v0, vcc_lo, v0, 64
	v_add_co_ci_u32_e64 v1, null, 0, v1, vcc_lo
	v_cmp_le_i64_e32 vcc_lo, s[2:3], v[0:1]
	s_orn2_b32 s0, vcc_lo, exec_lo
	s_branch .LBB12_7
.LBB12_44:
	s_or_b32 exec_lo, exec_lo, s22
.LBB12_45:
	s_or_b32 exec_lo, exec_lo, s20
	v_mbcnt_lo_u32_b32 v0, -1, 0
	s_cmp_lg_u32 s10, 0
	v_or_b32_e32 v1, 32, v0
	v_xor_b32_e32 v2, 16, v0
	v_xor_b32_e32 v3, 8, v0
	v_cmp_gt_i32_e32 vcc_lo, 32, v1
	v_cndmask_b32_e32 v1, v0, v1, vcc_lo
	v_cmp_gt_i32_e32 vcc_lo, 32, v2
	v_lshlrev_b32_e32 v1, 2, v1
	v_cndmask_b32_e32 v2, v0, v2, vcc_lo
	v_cmp_gt_i32_e32 vcc_lo, 32, v3
	ds_bpermute_b32 v1, v1, v7
	v_lshlrev_b32_e32 v2, 2, v2
	v_cndmask_b32_e32 v3, v0, v3, vcc_lo
	v_lshlrev_b32_e32 v3, 2, v3
	s_waitcnt lgkmcnt(0)
	v_add_f32_e32 v1, v7, v1
	ds_bpermute_b32 v2, v2, v1
	s_waitcnt lgkmcnt(0)
	v_add_f32_e32 v1, v1, v2
	ds_bpermute_b32 v2, v3, v1
	v_xor_b32_e32 v3, 4, v0
	v_cmp_gt_i32_e32 vcc_lo, 32, v3
	v_cndmask_b32_e32 v3, v0, v3, vcc_lo
	v_lshlrev_b32_e32 v3, 2, v3
	s_waitcnt lgkmcnt(0)
	v_add_f32_e32 v1, v1, v2
	ds_bpermute_b32 v2, v3, v1
	v_xor_b32_e32 v3, 2, v0
	v_cmp_gt_i32_e32 vcc_lo, 32, v3
	v_cndmask_b32_e32 v3, v0, v3, vcc_lo
	v_lshlrev_b32_e32 v3, 2, v3
	;; [unrolled: 7-line block ×3, first 2 shown]
	s_waitcnt lgkmcnt(0)
	v_add_f32_e32 v1, v1, v2
	ds_bpermute_b32 v0, v0, v1
	s_waitcnt lgkmcnt(0)
	v_add_f32_e32 v0, v1, v0
	s_cbranch_scc1 .LBB12_47
; %bb.46:
	s_lshl_b32 s0, s11, 2
	s_waitcnt_vscnt null, 0x0
	buffer_gl0_inv
	v_mov_b32_e32 v1, s0
	ds_read_b32 v1, v1
	s_waitcnt lgkmcnt(0)
	v_mul_f32_e32 v0, v0, v1
.LBB12_47:
	s_mov_b32 s0, exec_lo
	v_cmpx_eq_u32_e32 63, v6
	s_cbranch_execz .LBB12_49
; %bb.48:
	s_lshl_b64 s[0:1], s[16:17], 2
	v_mov_b32_e32 v1, 0
	s_add_u32 s2, s12, s0
	v_mov_b32_e32 v2, 1
	s_addc_u32 s3, s13, s1
	s_add_u32 s0, s14, s0
	s_addc_u32 s1, s15, s1
	global_store_dword v1, v0, s[2:3] glc slc
	s_waitcnt_vscnt null, 0x0
	global_store_dword v1, v2, s[0:1]
.LBB12_49:
	s_endpgm
	.section	.rodata,"a",@progbits
	.p2align	6, 0x0
	.amdhsa_kernel _ZN9rocsparseL12csrsv_kernelILj1024ELj64ELb1ElifEEvT3_NS_24const_host_device_scalarIT4_EEPKT2_PKS1_PKS3_SB_lPS3_PiS9_iPS1_21rocsparse_index_base_20rocsparse_fill_mode_20rocsparse_diag_type_b
		.amdhsa_group_segment_fixed_size 64
		.amdhsa_private_segment_fixed_size 0
		.amdhsa_kernarg_size 112
		.amdhsa_user_sgpr_count 6
		.amdhsa_user_sgpr_private_segment_buffer 1
		.amdhsa_user_sgpr_dispatch_ptr 0
		.amdhsa_user_sgpr_queue_ptr 0
		.amdhsa_user_sgpr_kernarg_segment_ptr 1
		.amdhsa_user_sgpr_dispatch_id 0
		.amdhsa_user_sgpr_flat_scratch_init 0
		.amdhsa_user_sgpr_private_segment_size 0
		.amdhsa_wavefront_size32 1
		.amdhsa_uses_dynamic_stack 0
		.amdhsa_system_sgpr_private_segment_wavefront_offset 0
		.amdhsa_system_sgpr_workgroup_id_x 1
		.amdhsa_system_sgpr_workgroup_id_y 0
		.amdhsa_system_sgpr_workgroup_id_z 0
		.amdhsa_system_sgpr_workgroup_info 0
		.amdhsa_system_vgpr_workitem_id 0
		.amdhsa_next_free_vgpr 12
		.amdhsa_next_free_sgpr 29
		.amdhsa_reserve_vcc 1
		.amdhsa_reserve_flat_scratch 0
		.amdhsa_float_round_mode_32 0
		.amdhsa_float_round_mode_16_64 0
		.amdhsa_float_denorm_mode_32 3
		.amdhsa_float_denorm_mode_16_64 3
		.amdhsa_dx10_clamp 1
		.amdhsa_ieee_mode 1
		.amdhsa_fp16_overflow 0
		.amdhsa_workgroup_processor_mode 1
		.amdhsa_memory_ordered 1
		.amdhsa_forward_progress 1
		.amdhsa_shared_vgpr_count 0
		.amdhsa_exception_fp_ieee_invalid_op 0
		.amdhsa_exception_fp_denorm_src 0
		.amdhsa_exception_fp_ieee_div_zero 0
		.amdhsa_exception_fp_ieee_overflow 0
		.amdhsa_exception_fp_ieee_underflow 0
		.amdhsa_exception_fp_ieee_inexact 0
		.amdhsa_exception_int_div_zero 0
	.end_amdhsa_kernel
	.section	.text._ZN9rocsparseL12csrsv_kernelILj1024ELj64ELb1ElifEEvT3_NS_24const_host_device_scalarIT4_EEPKT2_PKS1_PKS3_SB_lPS3_PiS9_iPS1_21rocsparse_index_base_20rocsparse_fill_mode_20rocsparse_diag_type_b,"axG",@progbits,_ZN9rocsparseL12csrsv_kernelILj1024ELj64ELb1ElifEEvT3_NS_24const_host_device_scalarIT4_EEPKT2_PKS1_PKS3_SB_lPS3_PiS9_iPS1_21rocsparse_index_base_20rocsparse_fill_mode_20rocsparse_diag_type_b,comdat
.Lfunc_end12:
	.size	_ZN9rocsparseL12csrsv_kernelILj1024ELj64ELb1ElifEEvT3_NS_24const_host_device_scalarIT4_EEPKT2_PKS1_PKS3_SB_lPS3_PiS9_iPS1_21rocsparse_index_base_20rocsparse_fill_mode_20rocsparse_diag_type_b, .Lfunc_end12-_ZN9rocsparseL12csrsv_kernelILj1024ELj64ELb1ElifEEvT3_NS_24const_host_device_scalarIT4_EEPKT2_PKS1_PKS3_SB_lPS3_PiS9_iPS1_21rocsparse_index_base_20rocsparse_fill_mode_20rocsparse_diag_type_b
                                        ; -- End function
	.set _ZN9rocsparseL12csrsv_kernelILj1024ELj64ELb1ElifEEvT3_NS_24const_host_device_scalarIT4_EEPKT2_PKS1_PKS3_SB_lPS3_PiS9_iPS1_21rocsparse_index_base_20rocsparse_fill_mode_20rocsparse_diag_type_b.num_vgpr, 12
	.set _ZN9rocsparseL12csrsv_kernelILj1024ELj64ELb1ElifEEvT3_NS_24const_host_device_scalarIT4_EEPKT2_PKS1_PKS3_SB_lPS3_PiS9_iPS1_21rocsparse_index_base_20rocsparse_fill_mode_20rocsparse_diag_type_b.num_agpr, 0
	.set _ZN9rocsparseL12csrsv_kernelILj1024ELj64ELb1ElifEEvT3_NS_24const_host_device_scalarIT4_EEPKT2_PKS1_PKS3_SB_lPS3_PiS9_iPS1_21rocsparse_index_base_20rocsparse_fill_mode_20rocsparse_diag_type_b.numbered_sgpr, 29
	.set _ZN9rocsparseL12csrsv_kernelILj1024ELj64ELb1ElifEEvT3_NS_24const_host_device_scalarIT4_EEPKT2_PKS1_PKS3_SB_lPS3_PiS9_iPS1_21rocsparse_index_base_20rocsparse_fill_mode_20rocsparse_diag_type_b.num_named_barrier, 0
	.set _ZN9rocsparseL12csrsv_kernelILj1024ELj64ELb1ElifEEvT3_NS_24const_host_device_scalarIT4_EEPKT2_PKS1_PKS3_SB_lPS3_PiS9_iPS1_21rocsparse_index_base_20rocsparse_fill_mode_20rocsparse_diag_type_b.private_seg_size, 0
	.set _ZN9rocsparseL12csrsv_kernelILj1024ELj64ELb1ElifEEvT3_NS_24const_host_device_scalarIT4_EEPKT2_PKS1_PKS3_SB_lPS3_PiS9_iPS1_21rocsparse_index_base_20rocsparse_fill_mode_20rocsparse_diag_type_b.uses_vcc, 1
	.set _ZN9rocsparseL12csrsv_kernelILj1024ELj64ELb1ElifEEvT3_NS_24const_host_device_scalarIT4_EEPKT2_PKS1_PKS3_SB_lPS3_PiS9_iPS1_21rocsparse_index_base_20rocsparse_fill_mode_20rocsparse_diag_type_b.uses_flat_scratch, 0
	.set _ZN9rocsparseL12csrsv_kernelILj1024ELj64ELb1ElifEEvT3_NS_24const_host_device_scalarIT4_EEPKT2_PKS1_PKS3_SB_lPS3_PiS9_iPS1_21rocsparse_index_base_20rocsparse_fill_mode_20rocsparse_diag_type_b.has_dyn_sized_stack, 0
	.set _ZN9rocsparseL12csrsv_kernelILj1024ELj64ELb1ElifEEvT3_NS_24const_host_device_scalarIT4_EEPKT2_PKS1_PKS3_SB_lPS3_PiS9_iPS1_21rocsparse_index_base_20rocsparse_fill_mode_20rocsparse_diag_type_b.has_recursion, 0
	.set _ZN9rocsparseL12csrsv_kernelILj1024ELj64ELb1ElifEEvT3_NS_24const_host_device_scalarIT4_EEPKT2_PKS1_PKS3_SB_lPS3_PiS9_iPS1_21rocsparse_index_base_20rocsparse_fill_mode_20rocsparse_diag_type_b.has_indirect_call, 0
	.section	.AMDGPU.csdata,"",@progbits
; Kernel info:
; codeLenInByte = 1572
; TotalNumSgprs: 31
; NumVgprs: 12
; ScratchSize: 0
; MemoryBound: 0
; FloatMode: 240
; IeeeMode: 1
; LDSByteSize: 64 bytes/workgroup (compile time only)
; SGPRBlocks: 0
; VGPRBlocks: 1
; NumSGPRsForWavesPerEU: 31
; NumVGPRsForWavesPerEU: 12
; Occupancy: 16
; WaveLimiterHint : 1
; COMPUTE_PGM_RSRC2:SCRATCH_EN: 0
; COMPUTE_PGM_RSRC2:USER_SGPR: 6
; COMPUTE_PGM_RSRC2:TRAP_HANDLER: 0
; COMPUTE_PGM_RSRC2:TGID_X_EN: 1
; COMPUTE_PGM_RSRC2:TGID_Y_EN: 0
; COMPUTE_PGM_RSRC2:TGID_Z_EN: 0
; COMPUTE_PGM_RSRC2:TIDIG_COMP_CNT: 0
	.section	.text._ZN9rocsparseL12csrsv_kernelILj1024ELj32ELb0ElifEEvT3_NS_24const_host_device_scalarIT4_EEPKT2_PKS1_PKS3_SB_lPS3_PiS9_iPS1_21rocsparse_index_base_20rocsparse_fill_mode_20rocsparse_diag_type_b,"axG",@progbits,_ZN9rocsparseL12csrsv_kernelILj1024ELj32ELb0ElifEEvT3_NS_24const_host_device_scalarIT4_EEPKT2_PKS1_PKS3_SB_lPS3_PiS9_iPS1_21rocsparse_index_base_20rocsparse_fill_mode_20rocsparse_diag_type_b,comdat
	.globl	_ZN9rocsparseL12csrsv_kernelILj1024ELj32ELb0ElifEEvT3_NS_24const_host_device_scalarIT4_EEPKT2_PKS1_PKS3_SB_lPS3_PiS9_iPS1_21rocsparse_index_base_20rocsparse_fill_mode_20rocsparse_diag_type_b ; -- Begin function _ZN9rocsparseL12csrsv_kernelILj1024ELj32ELb0ElifEEvT3_NS_24const_host_device_scalarIT4_EEPKT2_PKS1_PKS3_SB_lPS3_PiS9_iPS1_21rocsparse_index_base_20rocsparse_fill_mode_20rocsparse_diag_type_b
	.p2align	8
	.type	_ZN9rocsparseL12csrsv_kernelILj1024ELj32ELb0ElifEEvT3_NS_24const_host_device_scalarIT4_EEPKT2_PKS1_PKS3_SB_lPS3_PiS9_iPS1_21rocsparse_index_base_20rocsparse_fill_mode_20rocsparse_diag_type_b,@function
_ZN9rocsparseL12csrsv_kernelILj1024ELj32ELb0ElifEEvT3_NS_24const_host_device_scalarIT4_EEPKT2_PKS1_PKS3_SB_lPS3_PiS9_iPS1_21rocsparse_index_base_20rocsparse_fill_mode_20rocsparse_diag_type_b: ; @_ZN9rocsparseL12csrsv_kernelILj1024ELj32ELb0ElifEEvT3_NS_24const_host_device_scalarIT4_EEPKT2_PKS1_PKS3_SB_lPS3_PiS9_iPS1_21rocsparse_index_base_20rocsparse_fill_mode_20rocsparse_diag_type_b
; %bb.0:
	s_clause 0x1
	s_load_dwordx4 s[8:11], s[4:5], 0x60
	s_load_dwordx2 s[18:19], s[4:5], 0x8
	s_waitcnt lgkmcnt(0)
	s_bitcmp1_b32 s11, 0
	s_cselect_b32 s0, -1, 0
	s_and_b32 vcc_lo, exec_lo, s0
	s_cbranch_vccnz .LBB13_2
; %bb.1:
	s_load_dword s18, s[18:19], 0x0
.LBB13_2:
	s_load_dword s1, s[4:5], 0x0
	v_readfirstlane_b32 s0, v0
	s_lshr_b32 s11, s0, 5
	s_lshl_b32 s0, s6, 5
	s_add_i32 s0, s11, s0
	s_waitcnt lgkmcnt(0)
	s_cmp_ge_i32 s0, s1
	s_cbranch_scc1 .LBB13_47
; %bb.3:
	s_clause 0x2
	s_load_dword s1, s[4:5], 0x50
	s_load_dwordx2 s[2:3], s[4:5], 0x48
	s_load_dwordx4 s[12:15], s[4:5], 0x38
	v_and_b32_e32 v6, 31, v0
	v_mov_b32_e32 v7, 0
	s_mov_b32 s6, exec_lo
	s_waitcnt lgkmcnt(0)
	s_add_i32 s0, s0, s1
	s_ashr_i32 s1, s0, 31
	s_lshl_b64 s[0:1], s[0:1], 2
	s_add_u32 s0, s2, s0
	s_addc_u32 s1, s3, s1
	s_load_dword s16, s[0:1], 0x0
	s_load_dwordx2 s[0:1], s[4:5], 0x10
	s_waitcnt lgkmcnt(0)
	s_ashr_i32 s17, s16, 31
	s_lshl_b64 s[2:3], s[16:17], 3
	s_add_u32 s0, s0, s2
	s_addc_u32 s1, s1, s3
	s_load_dwordx4 s[0:3], s[0:1], 0x0
	v_cmpx_eq_u32_e32 0, v6
	s_cbranch_execz .LBB13_5
; %bb.4:
	s_load_dwordx4 s[20:23], s[4:5], 0x28
	s_waitcnt lgkmcnt(0)
	s_mul_i32 s7, s22, s17
	s_mul_hi_u32 s19, s22, s16
	s_mul_i32 s23, s23, s16
	s_add_i32 s7, s19, s7
	s_mul_i32 s22, s22, s16
	s_add_i32 s23, s7, s23
	s_lshl_b64 s[22:23], s[22:23], 2
	s_add_u32 s20, s20, s22
	s_addc_u32 s21, s21, s23
	s_load_dword s7, s[20:21], 0x0
	s_waitcnt lgkmcnt(0)
	v_mul_f32_e64 v7, s18, s7
.LBB13_5:
	s_or_b32 exec_lo, exec_lo, s6
	v_sub_co_u32 v0, s6, v6, s8
	v_sub_co_ci_u32_e64 v1, null, 0, 0, s6
	s_waitcnt lgkmcnt(0)
	s_sub_u32 s2, s2, s8
	v_add_co_u32 v0, vcc_lo, s0, v0
	v_add_co_ci_u32_e64 v1, null, s1, v1, vcc_lo
	s_subb_u32 s3, s3, 0
	s_mov_b32 s20, exec_lo
	v_cmpx_gt_i64_e64 s[2:3], v[0:1]
	s_cbranch_execz .LBB13_43
; %bb.6:
	s_clause 0x1
	s_load_dwordx2 s[18:19], s[4:5], 0x58
	s_load_dwordx4 s[4:7], s[4:5], 0x18
	v_mov_b32_e32 v8, 0
	s_cmp_eq_u32 s10, 0
	s_mov_b32 s22, 0
	s_cselect_b32 s21, -1, 0
	s_add_i32 s23, s16, s8
	s_lshl_b32 s24, s11, 2
	s_branch .LBB13_8
.LBB13_7:                               ;   in Loop: Header=BB13_8 Depth=1
	s_or_b32 exec_lo, exec_lo, s1
	s_and_b32 s0, exec_lo, s0
	s_or_b32 s22, s0, s22
	s_andn2_b32 exec_lo, exec_lo, s22
	s_cbranch_execz .LBB13_42
.LBB13_8:                               ; =>This Loop Header: Depth=1
                                        ;     Child Loop BB13_25 Depth 2
	v_lshlrev_b64 v[2:3], 2, v[0:1]
	s_waitcnt lgkmcnt(0)
	v_add_co_u32 v4, vcc_lo, s4, v2
	v_add_co_ci_u32_e64 v5, null, s5, v3, vcc_lo
	v_add_co_u32 v2, vcc_lo, s6, v2
	v_add_co_ci_u32_e64 v3, null, s7, v3, vcc_lo
	global_load_dword v4, v[4:5], off slc
	global_load_dword v9, v[2:3], off slc
	s_waitcnt vmcnt(1)
	v_subrev_nc_u32_e32 v2, s8, v4
	s_waitcnt vmcnt(0)
	v_cmp_eq_f32_e64 s1, 0, v9
	v_cmp_eq_u32_e32 vcc_lo, s16, v2
	v_cmp_ne_u32_e64 s0, s16, v2
	s_and_b32 s25, s21, vcc_lo
	s_and_b32 s1, s1, s25
	s_and_saveexec_b32 s25, s1
	s_cbranch_execz .LBB13_12
; %bb.9:                                ;   in Loop: Header=BB13_8 Depth=1
	v_mbcnt_lo_u32_b32 v3, exec_lo, 0
	s_mov_b32 s26, exec_lo
	v_cmpx_eq_u32_e32 0, v3
	s_cbranch_execz .LBB13_11
; %bb.10:                               ;   in Loop: Header=BB13_8 Depth=1
	v_mov_b32_e32 v3, s23
	global_atomic_smin v8, v3, s[18:19]
.LBB13_11:                              ;   in Loop: Header=BB13_8 Depth=1
	s_or_b32 exec_lo, exec_lo, s26
	v_mov_b32_e32 v9, 1.0
.LBB13_12:                              ;   in Loop: Header=BB13_8 Depth=1
	s_or_b32 exec_lo, exec_lo, s25
	s_mov_b32 s1, -1
	s_mov_b32 s25, 0
	s_cmp_lt_i32 s9, 1
	s_mov_b32 s26, 0
	s_cbranch_scc1 .LBB13_27
; %bb.13:                               ;   in Loop: Header=BB13_8 Depth=1
	s_cmp_eq_u32 s9, 1
	s_mov_b32 s26, -1
	s_cbranch_scc0 .LBB13_21
; %bb.14:                               ;   in Loop: Header=BB13_8 Depth=1
	s_mov_b32 s26, 0
	s_mov_b32 s27, exec_lo
	v_cmpx_le_i32_e64 s16, v2
	s_cbranch_execz .LBB13_20
; %bb.15:                               ;   in Loop: Header=BB13_8 Depth=1
	s_mov_b32 s26, -1
	s_and_saveexec_b32 s1, vcc_lo
	s_xor_b32 s1, exec_lo, s1
	s_cbranch_execz .LBB13_19
; %bb.16:                               ;   in Loop: Header=BB13_8 Depth=1
	s_andn2_b32 vcc_lo, exec_lo, s21
	s_cbranch_vccnz .LBB13_18
; %bb.17:                               ;   in Loop: Header=BB13_8 Depth=1
	v_div_scale_f32 v3, null, v9, v9, 1.0
	v_div_scale_f32 v10, vcc_lo, 1.0, v9, 1.0
	v_rcp_f32_e32 v4, v3
	v_fma_f32 v5, -v3, v4, 1.0
	v_fmac_f32_e32 v4, v5, v4
	v_mul_f32_e32 v5, v10, v4
	v_fma_f32 v11, -v3, v5, v10
	v_fmac_f32_e32 v5, v11, v4
	v_fma_f32 v3, -v3, v5, v10
	v_div_fmas_f32 v3, v3, v4, v5
	v_mov_b32_e32 v4, s24
	v_div_fixup_f32 v3, v3, v9, 1.0
	ds_write_b32 v4, v3
.LBB13_18:                              ;   in Loop: Header=BB13_8 Depth=1
	s_xor_b32 s26, exec_lo, -1
.LBB13_19:                              ;   in Loop: Header=BB13_8 Depth=1
	s_or_b32 exec_lo, exec_lo, s1
	s_and_b32 s26, s26, exec_lo
.LBB13_20:                              ;   in Loop: Header=BB13_8 Depth=1
	s_or_b32 exec_lo, exec_lo, s27
.LBB13_21:                              ;   in Loop: Header=BB13_8 Depth=1
	s_mov_b32 s1, 4
.LBB13_22:                              ;   in Loop: Header=BB13_8 Depth=1
	v_mov_b32_e32 v3, s1
	v_mov_b32_e32 v4, v7
	s_and_saveexec_b32 s0, s26
	s_cbranch_execz .LBB13_34
.LBB13_23:                              ;   in Loop: Header=BB13_8 Depth=1
	v_ashrrev_i32_e32 v3, 31, v2
	s_mov_b32 s1, exec_lo
	v_lshlrev_b64 v[2:3], 2, v[2:3]
	v_add_co_u32 v4, vcc_lo, s14, v2
	v_add_co_ci_u32_e64 v5, null, s15, v3, vcc_lo
	global_load_dword v10, v[4:5], off glc dlc
	s_waitcnt vmcnt(0)
	v_cmpx_eq_u32_e32 0, v10
	s_cbranch_execz .LBB13_26
; %bb.24:                               ;   in Loop: Header=BB13_8 Depth=1
	s_mov_b32 s26, 0
.LBB13_25:                              ;   Parent Loop BB13_8 Depth=1
                                        ; =>  This Inner Loop Header: Depth=2
	global_load_dword v10, v[4:5], off glc dlc
	s_waitcnt vmcnt(0)
	v_cmp_ne_u32_e32 vcc_lo, 0, v10
	s_or_b32 s26, vcc_lo, s26
	s_andn2_b32 exec_lo, exec_lo, s26
	s_cbranch_execnz .LBB13_25
.LBB13_26:                              ;   in Loop: Header=BB13_8 Depth=1
	s_or_b32 exec_lo, exec_lo, s1
	v_add_co_u32 v2, vcc_lo, s12, v2
	v_add_co_ci_u32_e64 v3, null, s13, v3, vcc_lo
	s_waitcnt lgkmcnt(0)
	s_waitcnt_vscnt null, 0x0
	buffer_gl1_inv
	buffer_gl0_inv
	s_andn2_b32 s25, s25, exec_lo
	global_load_dword v2, v[2:3], off
	v_mov_b32_e32 v3, 0
	s_waitcnt vmcnt(0)
	v_fma_f32 v4, -v9, v2, v7
	s_or_b32 exec_lo, exec_lo, s0
	s_and_saveexec_b32 s0, s25
	s_cbranch_execnz .LBB13_35
	s_branch .LBB13_38
.LBB13_27:                              ;   in Loop: Header=BB13_8 Depth=1
	s_and_b32 vcc_lo, exec_lo, s1
	s_mov_b32 s1, 4
	s_cbranch_vccz .LBB13_22
; %bb.28:                               ;   in Loop: Header=BB13_8 Depth=1
	s_cmp_eq_u32 s9, 0
	s_cbranch_scc1 .LBB13_30
; %bb.29:                               ;   in Loop: Header=BB13_8 Depth=1
	s_mov_b32 s26, -1
	s_branch .LBB13_33
.LBB13_30:                              ;   in Loop: Header=BB13_8 Depth=1
	s_mov_b32 s26, 0
	s_mov_b32 s1, exec_lo
	v_cmpx_ge_i32_e64 s16, v2
; %bb.31:                               ;   in Loop: Header=BB13_8 Depth=1
	s_mov_b32 s25, exec_lo
	s_and_b32 s26, s0, exec_lo
; %bb.32:                               ;   in Loop: Header=BB13_8 Depth=1
	s_or_b32 exec_lo, exec_lo, s1
.LBB13_33:                              ;   in Loop: Header=BB13_8 Depth=1
	s_mov_b32 s1, 2
	v_mov_b32_e32 v3, s1
	v_mov_b32_e32 v4, v7
	s_and_saveexec_b32 s0, s26
	s_cbranch_execnz .LBB13_23
.LBB13_34:                              ;   in Loop: Header=BB13_8 Depth=1
	s_or_b32 exec_lo, exec_lo, s0
	s_and_saveexec_b32 s0, s25
	s_cbranch_execz .LBB13_38
.LBB13_35:                              ;   in Loop: Header=BB13_8 Depth=1
	s_andn2_b32 vcc_lo, exec_lo, s21
	s_cbranch_vccnz .LBB13_37
; %bb.36:                               ;   in Loop: Header=BB13_8 Depth=1
	v_div_scale_f32 v2, null, v9, v9, 1.0
	v_div_scale_f32 v5, vcc_lo, 1.0, v9, 1.0
	v_rcp_f32_e32 v3, v2
	v_fma_f32 v4, -v2, v3, 1.0
	v_fmac_f32_e32 v3, v4, v3
	v_mul_f32_e32 v4, v5, v3
	v_fma_f32 v10, -v2, v4, v5
	v_fmac_f32_e32 v4, v10, v3
	v_fma_f32 v2, -v2, v4, v5
	v_div_fmas_f32 v2, v2, v3, v4
	v_mov_b32_e32 v3, s24
	v_div_fixup_f32 v2, v2, v9, 1.0
	ds_write_b32 v3, v2
.LBB13_37:                              ;   in Loop: Header=BB13_8 Depth=1
	v_mov_b32_e32 v3, 2
	v_mov_b32_e32 v4, v7
.LBB13_38:                              ;   in Loop: Header=BB13_8 Depth=1
	s_or_b32 exec_lo, exec_lo, s0
	v_mov_b32_e32 v7, v4
	s_mov_b32 s0, -1
	s_mov_b32 s25, -1
	s_mov_b32 s1, exec_lo
	v_cmpx_gt_i32_e32 4, v3
; %bb.39:                               ;   in Loop: Header=BB13_8 Depth=1
	v_cmp_eq_u32_e32 vcc_lo, 0, v3
	s_orn2_b32 s25, vcc_lo, exec_lo
; %bb.40:                               ;   in Loop: Header=BB13_8 Depth=1
	s_or_b32 exec_lo, exec_lo, s1
	s_and_saveexec_b32 s1, s25
	s_cbranch_execz .LBB13_7
; %bb.41:                               ;   in Loop: Header=BB13_8 Depth=1
	v_add_co_u32 v0, vcc_lo, v0, 32
	v_add_co_ci_u32_e64 v1, null, 0, v1, vcc_lo
	v_cmp_le_i64_e32 vcc_lo, s[2:3], v[0:1]
	s_orn2_b32 s0, vcc_lo, exec_lo
	s_branch .LBB13_7
.LBB13_42:
	s_or_b32 exec_lo, exec_lo, s22
.LBB13_43:
	s_or_b32 exec_lo, exec_lo, s20
	v_mbcnt_lo_u32_b32 v0, -1, 0
	s_cmp_lg_u32 s10, 0
	v_xor_b32_e32 v1, 16, v0
	v_xor_b32_e32 v2, 8, v0
	;; [unrolled: 1-line block ×3, first 2 shown]
	v_cmp_gt_i32_e32 vcc_lo, 32, v1
	v_cndmask_b32_e32 v1, v0, v1, vcc_lo
	v_cmp_gt_i32_e32 vcc_lo, 32, v2
	v_lshlrev_b32_e32 v1, 2, v1
	v_cndmask_b32_e32 v2, v0, v2, vcc_lo
	v_cmp_gt_i32_e32 vcc_lo, 32, v3
	ds_bpermute_b32 v1, v1, v7
	v_lshlrev_b32_e32 v2, 2, v2
	v_cndmask_b32_e32 v3, v0, v3, vcc_lo
	v_lshlrev_b32_e32 v3, 2, v3
	s_waitcnt lgkmcnt(0)
	v_add_f32_e32 v1, v7, v1
	ds_bpermute_b32 v2, v2, v1
	s_waitcnt lgkmcnt(0)
	v_add_f32_e32 v1, v1, v2
	ds_bpermute_b32 v2, v3, v1
	v_xor_b32_e32 v3, 2, v0
	v_cmp_gt_i32_e32 vcc_lo, 32, v3
	v_cndmask_b32_e32 v3, v0, v3, vcc_lo
	v_lshlrev_b32_e32 v3, 2, v3
	s_waitcnt lgkmcnt(0)
	v_add_f32_e32 v1, v1, v2
	ds_bpermute_b32 v2, v3, v1
	v_xor_b32_e32 v3, 1, v0
	v_cmp_gt_i32_e32 vcc_lo, 32, v3
	v_cndmask_b32_e32 v0, v0, v3, vcc_lo
	v_lshlrev_b32_e32 v0, 2, v0
	s_waitcnt lgkmcnt(0)
	v_add_f32_e32 v1, v1, v2
	ds_bpermute_b32 v0, v0, v1
	s_waitcnt lgkmcnt(0)
	v_add_f32_e32 v0, v1, v0
	s_cbranch_scc1 .LBB13_45
; %bb.44:
	s_lshl_b32 s0, s11, 2
	s_waitcnt_vscnt null, 0x0
	buffer_gl0_inv
	v_mov_b32_e32 v1, s0
	ds_read_b32 v1, v1
	s_waitcnt lgkmcnt(0)
	v_mul_f32_e32 v0, v0, v1
.LBB13_45:
	s_mov_b32 s0, exec_lo
	v_cmpx_eq_u32_e32 31, v6
	s_cbranch_execz .LBB13_47
; %bb.46:
	s_lshl_b64 s[0:1], s[16:17], 2
	v_mov_b32_e32 v1, 0
	s_add_u32 s2, s12, s0
	v_mov_b32_e32 v2, 1
	s_addc_u32 s3, s13, s1
	s_add_u32 s0, s14, s0
	s_addc_u32 s1, s15, s1
	global_store_dword v1, v0, s[2:3] glc slc
	s_waitcnt_vscnt null, 0x0
	global_store_dword v1, v2, s[0:1]
.LBB13_47:
	s_endpgm
	.section	.rodata,"a",@progbits
	.p2align	6, 0x0
	.amdhsa_kernel _ZN9rocsparseL12csrsv_kernelILj1024ELj32ELb0ElifEEvT3_NS_24const_host_device_scalarIT4_EEPKT2_PKS1_PKS3_SB_lPS3_PiS9_iPS1_21rocsparse_index_base_20rocsparse_fill_mode_20rocsparse_diag_type_b
		.amdhsa_group_segment_fixed_size 128
		.amdhsa_private_segment_fixed_size 0
		.amdhsa_kernarg_size 112
		.amdhsa_user_sgpr_count 6
		.amdhsa_user_sgpr_private_segment_buffer 1
		.amdhsa_user_sgpr_dispatch_ptr 0
		.amdhsa_user_sgpr_queue_ptr 0
		.amdhsa_user_sgpr_kernarg_segment_ptr 1
		.amdhsa_user_sgpr_dispatch_id 0
		.amdhsa_user_sgpr_flat_scratch_init 0
		.amdhsa_user_sgpr_private_segment_size 0
		.amdhsa_wavefront_size32 1
		.amdhsa_uses_dynamic_stack 0
		.amdhsa_system_sgpr_private_segment_wavefront_offset 0
		.amdhsa_system_sgpr_workgroup_id_x 1
		.amdhsa_system_sgpr_workgroup_id_y 0
		.amdhsa_system_sgpr_workgroup_id_z 0
		.amdhsa_system_sgpr_workgroup_info 0
		.amdhsa_system_vgpr_workitem_id 0
		.amdhsa_next_free_vgpr 12
		.amdhsa_next_free_sgpr 28
		.amdhsa_reserve_vcc 1
		.amdhsa_reserve_flat_scratch 0
		.amdhsa_float_round_mode_32 0
		.amdhsa_float_round_mode_16_64 0
		.amdhsa_float_denorm_mode_32 3
		.amdhsa_float_denorm_mode_16_64 3
		.amdhsa_dx10_clamp 1
		.amdhsa_ieee_mode 1
		.amdhsa_fp16_overflow 0
		.amdhsa_workgroup_processor_mode 1
		.amdhsa_memory_ordered 1
		.amdhsa_forward_progress 1
		.amdhsa_shared_vgpr_count 0
		.amdhsa_exception_fp_ieee_invalid_op 0
		.amdhsa_exception_fp_denorm_src 0
		.amdhsa_exception_fp_ieee_div_zero 0
		.amdhsa_exception_fp_ieee_overflow 0
		.amdhsa_exception_fp_ieee_underflow 0
		.amdhsa_exception_fp_ieee_inexact 0
		.amdhsa_exception_int_div_zero 0
	.end_amdhsa_kernel
	.section	.text._ZN9rocsparseL12csrsv_kernelILj1024ELj32ELb0ElifEEvT3_NS_24const_host_device_scalarIT4_EEPKT2_PKS1_PKS3_SB_lPS3_PiS9_iPS1_21rocsparse_index_base_20rocsparse_fill_mode_20rocsparse_diag_type_b,"axG",@progbits,_ZN9rocsparseL12csrsv_kernelILj1024ELj32ELb0ElifEEvT3_NS_24const_host_device_scalarIT4_EEPKT2_PKS1_PKS3_SB_lPS3_PiS9_iPS1_21rocsparse_index_base_20rocsparse_fill_mode_20rocsparse_diag_type_b,comdat
.Lfunc_end13:
	.size	_ZN9rocsparseL12csrsv_kernelILj1024ELj32ELb0ElifEEvT3_NS_24const_host_device_scalarIT4_EEPKT2_PKS1_PKS3_SB_lPS3_PiS9_iPS1_21rocsparse_index_base_20rocsparse_fill_mode_20rocsparse_diag_type_b, .Lfunc_end13-_ZN9rocsparseL12csrsv_kernelILj1024ELj32ELb0ElifEEvT3_NS_24const_host_device_scalarIT4_EEPKT2_PKS1_PKS3_SB_lPS3_PiS9_iPS1_21rocsparse_index_base_20rocsparse_fill_mode_20rocsparse_diag_type_b
                                        ; -- End function
	.set _ZN9rocsparseL12csrsv_kernelILj1024ELj32ELb0ElifEEvT3_NS_24const_host_device_scalarIT4_EEPKT2_PKS1_PKS3_SB_lPS3_PiS9_iPS1_21rocsparse_index_base_20rocsparse_fill_mode_20rocsparse_diag_type_b.num_vgpr, 12
	.set _ZN9rocsparseL12csrsv_kernelILj1024ELj32ELb0ElifEEvT3_NS_24const_host_device_scalarIT4_EEPKT2_PKS1_PKS3_SB_lPS3_PiS9_iPS1_21rocsparse_index_base_20rocsparse_fill_mode_20rocsparse_diag_type_b.num_agpr, 0
	.set _ZN9rocsparseL12csrsv_kernelILj1024ELj32ELb0ElifEEvT3_NS_24const_host_device_scalarIT4_EEPKT2_PKS1_PKS3_SB_lPS3_PiS9_iPS1_21rocsparse_index_base_20rocsparse_fill_mode_20rocsparse_diag_type_b.numbered_sgpr, 28
	.set _ZN9rocsparseL12csrsv_kernelILj1024ELj32ELb0ElifEEvT3_NS_24const_host_device_scalarIT4_EEPKT2_PKS1_PKS3_SB_lPS3_PiS9_iPS1_21rocsparse_index_base_20rocsparse_fill_mode_20rocsparse_diag_type_b.num_named_barrier, 0
	.set _ZN9rocsparseL12csrsv_kernelILj1024ELj32ELb0ElifEEvT3_NS_24const_host_device_scalarIT4_EEPKT2_PKS1_PKS3_SB_lPS3_PiS9_iPS1_21rocsparse_index_base_20rocsparse_fill_mode_20rocsparse_diag_type_b.private_seg_size, 0
	.set _ZN9rocsparseL12csrsv_kernelILj1024ELj32ELb0ElifEEvT3_NS_24const_host_device_scalarIT4_EEPKT2_PKS1_PKS3_SB_lPS3_PiS9_iPS1_21rocsparse_index_base_20rocsparse_fill_mode_20rocsparse_diag_type_b.uses_vcc, 1
	.set _ZN9rocsparseL12csrsv_kernelILj1024ELj32ELb0ElifEEvT3_NS_24const_host_device_scalarIT4_EEPKT2_PKS1_PKS3_SB_lPS3_PiS9_iPS1_21rocsparse_index_base_20rocsparse_fill_mode_20rocsparse_diag_type_b.uses_flat_scratch, 0
	.set _ZN9rocsparseL12csrsv_kernelILj1024ELj32ELb0ElifEEvT3_NS_24const_host_device_scalarIT4_EEPKT2_PKS1_PKS3_SB_lPS3_PiS9_iPS1_21rocsparse_index_base_20rocsparse_fill_mode_20rocsparse_diag_type_b.has_dyn_sized_stack, 0
	.set _ZN9rocsparseL12csrsv_kernelILj1024ELj32ELb0ElifEEvT3_NS_24const_host_device_scalarIT4_EEPKT2_PKS1_PKS3_SB_lPS3_PiS9_iPS1_21rocsparse_index_base_20rocsparse_fill_mode_20rocsparse_diag_type_b.has_recursion, 0
	.set _ZN9rocsparseL12csrsv_kernelILj1024ELj32ELb0ElifEEvT3_NS_24const_host_device_scalarIT4_EEPKT2_PKS1_PKS3_SB_lPS3_PiS9_iPS1_21rocsparse_index_base_20rocsparse_fill_mode_20rocsparse_diag_type_b.has_indirect_call, 0
	.section	.AMDGPU.csdata,"",@progbits
; Kernel info:
; codeLenInByte = 1464
; TotalNumSgprs: 30
; NumVgprs: 12
; ScratchSize: 0
; MemoryBound: 0
; FloatMode: 240
; IeeeMode: 1
; LDSByteSize: 128 bytes/workgroup (compile time only)
; SGPRBlocks: 0
; VGPRBlocks: 1
; NumSGPRsForWavesPerEU: 30
; NumVGPRsForWavesPerEU: 12
; Occupancy: 16
; WaveLimiterHint : 1
; COMPUTE_PGM_RSRC2:SCRATCH_EN: 0
; COMPUTE_PGM_RSRC2:USER_SGPR: 6
; COMPUTE_PGM_RSRC2:TRAP_HANDLER: 0
; COMPUTE_PGM_RSRC2:TGID_X_EN: 1
; COMPUTE_PGM_RSRC2:TGID_Y_EN: 0
; COMPUTE_PGM_RSRC2:TGID_Z_EN: 0
; COMPUTE_PGM_RSRC2:TIDIG_COMP_CNT: 0
	.section	.text._ZN9rocsparseL12csrsv_kernelILj1024ELj64ELb0ElifEEvT3_NS_24const_host_device_scalarIT4_EEPKT2_PKS1_PKS3_SB_lPS3_PiS9_iPS1_21rocsparse_index_base_20rocsparse_fill_mode_20rocsparse_diag_type_b,"axG",@progbits,_ZN9rocsparseL12csrsv_kernelILj1024ELj64ELb0ElifEEvT3_NS_24const_host_device_scalarIT4_EEPKT2_PKS1_PKS3_SB_lPS3_PiS9_iPS1_21rocsparse_index_base_20rocsparse_fill_mode_20rocsparse_diag_type_b,comdat
	.globl	_ZN9rocsparseL12csrsv_kernelILj1024ELj64ELb0ElifEEvT3_NS_24const_host_device_scalarIT4_EEPKT2_PKS1_PKS3_SB_lPS3_PiS9_iPS1_21rocsparse_index_base_20rocsparse_fill_mode_20rocsparse_diag_type_b ; -- Begin function _ZN9rocsparseL12csrsv_kernelILj1024ELj64ELb0ElifEEvT3_NS_24const_host_device_scalarIT4_EEPKT2_PKS1_PKS3_SB_lPS3_PiS9_iPS1_21rocsparse_index_base_20rocsparse_fill_mode_20rocsparse_diag_type_b
	.p2align	8
	.type	_ZN9rocsparseL12csrsv_kernelILj1024ELj64ELb0ElifEEvT3_NS_24const_host_device_scalarIT4_EEPKT2_PKS1_PKS3_SB_lPS3_PiS9_iPS1_21rocsparse_index_base_20rocsparse_fill_mode_20rocsparse_diag_type_b,@function
_ZN9rocsparseL12csrsv_kernelILj1024ELj64ELb0ElifEEvT3_NS_24const_host_device_scalarIT4_EEPKT2_PKS1_PKS3_SB_lPS3_PiS9_iPS1_21rocsparse_index_base_20rocsparse_fill_mode_20rocsparse_diag_type_b: ; @_ZN9rocsparseL12csrsv_kernelILj1024ELj64ELb0ElifEEvT3_NS_24const_host_device_scalarIT4_EEPKT2_PKS1_PKS3_SB_lPS3_PiS9_iPS1_21rocsparse_index_base_20rocsparse_fill_mode_20rocsparse_diag_type_b
; %bb.0:
	s_clause 0x1
	s_load_dwordx4 s[8:11], s[4:5], 0x60
	s_load_dwordx2 s[18:19], s[4:5], 0x8
	s_waitcnt lgkmcnt(0)
	s_bitcmp1_b32 s11, 0
	s_cselect_b32 s0, -1, 0
	s_and_b32 vcc_lo, exec_lo, s0
	s_cbranch_vccnz .LBB14_2
; %bb.1:
	s_load_dword s18, s[18:19], 0x0
.LBB14_2:
	s_load_dword s1, s[4:5], 0x0
	v_readfirstlane_b32 s0, v0
	s_lshr_b32 s11, s0, 6
	s_lshl_b32 s0, s6, 4
	s_add_i32 s0, s11, s0
	s_waitcnt lgkmcnt(0)
	s_cmp_ge_i32 s0, s1
	s_cbranch_scc1 .LBB14_47
; %bb.3:
	s_clause 0x2
	s_load_dword s1, s[4:5], 0x50
	s_load_dwordx2 s[2:3], s[4:5], 0x48
	s_load_dwordx4 s[12:15], s[4:5], 0x38
	v_and_b32_e32 v6, 63, v0
	v_mov_b32_e32 v7, 0
	s_mov_b32 s6, exec_lo
	s_waitcnt lgkmcnt(0)
	s_add_i32 s0, s0, s1
	s_ashr_i32 s1, s0, 31
	s_lshl_b64 s[0:1], s[0:1], 2
	s_add_u32 s0, s2, s0
	s_addc_u32 s1, s3, s1
	s_load_dword s16, s[0:1], 0x0
	s_load_dwordx2 s[0:1], s[4:5], 0x10
	s_waitcnt lgkmcnt(0)
	s_ashr_i32 s17, s16, 31
	s_lshl_b64 s[2:3], s[16:17], 3
	s_add_u32 s0, s0, s2
	s_addc_u32 s1, s1, s3
	s_load_dwordx4 s[0:3], s[0:1], 0x0
	v_cmpx_eq_u32_e32 0, v6
	s_cbranch_execz .LBB14_5
; %bb.4:
	s_load_dwordx4 s[20:23], s[4:5], 0x28
	s_waitcnt lgkmcnt(0)
	s_mul_i32 s7, s22, s17
	s_mul_hi_u32 s19, s22, s16
	s_mul_i32 s23, s23, s16
	s_add_i32 s7, s19, s7
	s_mul_i32 s22, s22, s16
	s_add_i32 s23, s7, s23
	s_lshl_b64 s[22:23], s[22:23], 2
	s_add_u32 s20, s20, s22
	s_addc_u32 s21, s21, s23
	s_load_dword s7, s[20:21], 0x0
	s_waitcnt lgkmcnt(0)
	v_mul_f32_e64 v7, s18, s7
.LBB14_5:
	s_or_b32 exec_lo, exec_lo, s6
	v_sub_co_u32 v0, s6, v6, s8
	v_sub_co_ci_u32_e64 v1, null, 0, 0, s6
	s_waitcnt lgkmcnt(0)
	s_sub_u32 s2, s2, s8
	v_add_co_u32 v0, vcc_lo, s0, v0
	v_add_co_ci_u32_e64 v1, null, s1, v1, vcc_lo
	s_subb_u32 s3, s3, 0
	s_mov_b32 s20, exec_lo
	v_cmpx_gt_i64_e64 s[2:3], v[0:1]
	s_cbranch_execz .LBB14_43
; %bb.6:
	s_clause 0x1
	s_load_dwordx2 s[18:19], s[4:5], 0x58
	s_load_dwordx4 s[4:7], s[4:5], 0x18
	v_mov_b32_e32 v8, 0
	s_cmp_eq_u32 s10, 0
	s_mov_b32 s22, 0
	s_cselect_b32 s21, -1, 0
	s_add_i32 s23, s16, s8
	s_lshl_b32 s24, s11, 2
	s_branch .LBB14_8
.LBB14_7:                               ;   in Loop: Header=BB14_8 Depth=1
	s_or_b32 exec_lo, exec_lo, s1
	s_and_b32 s0, exec_lo, s0
	s_or_b32 s22, s0, s22
	s_andn2_b32 exec_lo, exec_lo, s22
	s_cbranch_execz .LBB14_42
.LBB14_8:                               ; =>This Loop Header: Depth=1
                                        ;     Child Loop BB14_25 Depth 2
	v_lshlrev_b64 v[2:3], 2, v[0:1]
	s_waitcnt lgkmcnt(0)
	v_add_co_u32 v4, vcc_lo, s4, v2
	v_add_co_ci_u32_e64 v5, null, s5, v3, vcc_lo
	v_add_co_u32 v2, vcc_lo, s6, v2
	v_add_co_ci_u32_e64 v3, null, s7, v3, vcc_lo
	global_load_dword v4, v[4:5], off slc
	global_load_dword v9, v[2:3], off slc
	s_waitcnt vmcnt(1)
	v_subrev_nc_u32_e32 v2, s8, v4
	s_waitcnt vmcnt(0)
	v_cmp_eq_f32_e64 s1, 0, v9
	v_cmp_eq_u32_e32 vcc_lo, s16, v2
	v_cmp_ne_u32_e64 s0, s16, v2
	s_and_b32 s25, s21, vcc_lo
	s_and_b32 s1, s1, s25
	s_and_saveexec_b32 s25, s1
	s_cbranch_execz .LBB14_12
; %bb.9:                                ;   in Loop: Header=BB14_8 Depth=1
	v_mbcnt_lo_u32_b32 v3, exec_lo, 0
	s_mov_b32 s26, exec_lo
	v_cmpx_eq_u32_e32 0, v3
	s_cbranch_execz .LBB14_11
; %bb.10:                               ;   in Loop: Header=BB14_8 Depth=1
	v_mov_b32_e32 v3, s23
	global_atomic_smin v8, v3, s[18:19]
.LBB14_11:                              ;   in Loop: Header=BB14_8 Depth=1
	s_or_b32 exec_lo, exec_lo, s26
	v_mov_b32_e32 v9, 1.0
.LBB14_12:                              ;   in Loop: Header=BB14_8 Depth=1
	s_or_b32 exec_lo, exec_lo, s25
	s_mov_b32 s1, -1
	s_mov_b32 s25, 0
	s_cmp_lt_i32 s9, 1
	s_mov_b32 s26, 0
	s_cbranch_scc1 .LBB14_27
; %bb.13:                               ;   in Loop: Header=BB14_8 Depth=1
	s_cmp_eq_u32 s9, 1
	s_mov_b32 s26, -1
	s_cbranch_scc0 .LBB14_21
; %bb.14:                               ;   in Loop: Header=BB14_8 Depth=1
	s_mov_b32 s26, 0
	s_mov_b32 s27, exec_lo
	v_cmpx_le_i32_e64 s16, v2
	s_cbranch_execz .LBB14_20
; %bb.15:                               ;   in Loop: Header=BB14_8 Depth=1
	s_mov_b32 s26, -1
	s_and_saveexec_b32 s1, vcc_lo
	s_xor_b32 s1, exec_lo, s1
	s_cbranch_execz .LBB14_19
; %bb.16:                               ;   in Loop: Header=BB14_8 Depth=1
	s_andn2_b32 vcc_lo, exec_lo, s21
	s_cbranch_vccnz .LBB14_18
; %bb.17:                               ;   in Loop: Header=BB14_8 Depth=1
	v_div_scale_f32 v3, null, v9, v9, 1.0
	v_div_scale_f32 v10, vcc_lo, 1.0, v9, 1.0
	v_rcp_f32_e32 v4, v3
	v_fma_f32 v5, -v3, v4, 1.0
	v_fmac_f32_e32 v4, v5, v4
	v_mul_f32_e32 v5, v10, v4
	v_fma_f32 v11, -v3, v5, v10
	v_fmac_f32_e32 v5, v11, v4
	v_fma_f32 v3, -v3, v5, v10
	v_div_fmas_f32 v3, v3, v4, v5
	v_mov_b32_e32 v4, s24
	v_div_fixup_f32 v3, v3, v9, 1.0
	ds_write_b32 v4, v3
.LBB14_18:                              ;   in Loop: Header=BB14_8 Depth=1
	s_xor_b32 s26, exec_lo, -1
.LBB14_19:                              ;   in Loop: Header=BB14_8 Depth=1
	s_or_b32 exec_lo, exec_lo, s1
	s_and_b32 s26, s26, exec_lo
.LBB14_20:                              ;   in Loop: Header=BB14_8 Depth=1
	s_or_b32 exec_lo, exec_lo, s27
.LBB14_21:                              ;   in Loop: Header=BB14_8 Depth=1
	s_mov_b32 s1, 4
.LBB14_22:                              ;   in Loop: Header=BB14_8 Depth=1
	v_mov_b32_e32 v3, s1
	v_mov_b32_e32 v4, v7
	s_and_saveexec_b32 s0, s26
	s_cbranch_execz .LBB14_34
.LBB14_23:                              ;   in Loop: Header=BB14_8 Depth=1
	v_ashrrev_i32_e32 v3, 31, v2
	s_mov_b32 s1, exec_lo
	v_lshlrev_b64 v[2:3], 2, v[2:3]
	v_add_co_u32 v4, vcc_lo, s14, v2
	v_add_co_ci_u32_e64 v5, null, s15, v3, vcc_lo
	global_load_dword v10, v[4:5], off glc dlc
	s_waitcnt vmcnt(0)
	v_cmpx_eq_u32_e32 0, v10
	s_cbranch_execz .LBB14_26
; %bb.24:                               ;   in Loop: Header=BB14_8 Depth=1
	s_mov_b32 s26, 0
.LBB14_25:                              ;   Parent Loop BB14_8 Depth=1
                                        ; =>  This Inner Loop Header: Depth=2
	global_load_dword v10, v[4:5], off glc dlc
	s_waitcnt vmcnt(0)
	v_cmp_ne_u32_e32 vcc_lo, 0, v10
	s_or_b32 s26, vcc_lo, s26
	s_andn2_b32 exec_lo, exec_lo, s26
	s_cbranch_execnz .LBB14_25
.LBB14_26:                              ;   in Loop: Header=BB14_8 Depth=1
	s_or_b32 exec_lo, exec_lo, s1
	v_add_co_u32 v2, vcc_lo, s12, v2
	v_add_co_ci_u32_e64 v3, null, s13, v3, vcc_lo
	s_waitcnt lgkmcnt(0)
	s_waitcnt_vscnt null, 0x0
	buffer_gl1_inv
	buffer_gl0_inv
	s_andn2_b32 s25, s25, exec_lo
	global_load_dword v2, v[2:3], off
	v_mov_b32_e32 v3, 0
	s_waitcnt vmcnt(0)
	v_fma_f32 v4, -v9, v2, v7
	s_or_b32 exec_lo, exec_lo, s0
	s_and_saveexec_b32 s0, s25
	s_cbranch_execnz .LBB14_35
	s_branch .LBB14_38
.LBB14_27:                              ;   in Loop: Header=BB14_8 Depth=1
	s_and_b32 vcc_lo, exec_lo, s1
	s_mov_b32 s1, 4
	s_cbranch_vccz .LBB14_22
; %bb.28:                               ;   in Loop: Header=BB14_8 Depth=1
	s_cmp_eq_u32 s9, 0
	s_cbranch_scc1 .LBB14_30
; %bb.29:                               ;   in Loop: Header=BB14_8 Depth=1
	s_mov_b32 s26, -1
	s_branch .LBB14_33
.LBB14_30:                              ;   in Loop: Header=BB14_8 Depth=1
	s_mov_b32 s26, 0
	s_mov_b32 s1, exec_lo
	v_cmpx_ge_i32_e64 s16, v2
; %bb.31:                               ;   in Loop: Header=BB14_8 Depth=1
	s_mov_b32 s25, exec_lo
	s_and_b32 s26, s0, exec_lo
; %bb.32:                               ;   in Loop: Header=BB14_8 Depth=1
	s_or_b32 exec_lo, exec_lo, s1
.LBB14_33:                              ;   in Loop: Header=BB14_8 Depth=1
	s_mov_b32 s1, 2
	v_mov_b32_e32 v3, s1
	v_mov_b32_e32 v4, v7
	s_and_saveexec_b32 s0, s26
	s_cbranch_execnz .LBB14_23
.LBB14_34:                              ;   in Loop: Header=BB14_8 Depth=1
	s_or_b32 exec_lo, exec_lo, s0
	s_and_saveexec_b32 s0, s25
	s_cbranch_execz .LBB14_38
.LBB14_35:                              ;   in Loop: Header=BB14_8 Depth=1
	s_andn2_b32 vcc_lo, exec_lo, s21
	s_cbranch_vccnz .LBB14_37
; %bb.36:                               ;   in Loop: Header=BB14_8 Depth=1
	v_div_scale_f32 v2, null, v9, v9, 1.0
	v_div_scale_f32 v5, vcc_lo, 1.0, v9, 1.0
	v_rcp_f32_e32 v3, v2
	v_fma_f32 v4, -v2, v3, 1.0
	v_fmac_f32_e32 v3, v4, v3
	v_mul_f32_e32 v4, v5, v3
	v_fma_f32 v10, -v2, v4, v5
	v_fmac_f32_e32 v4, v10, v3
	v_fma_f32 v2, -v2, v4, v5
	v_div_fmas_f32 v2, v2, v3, v4
	v_mov_b32_e32 v3, s24
	v_div_fixup_f32 v2, v2, v9, 1.0
	ds_write_b32 v3, v2
.LBB14_37:                              ;   in Loop: Header=BB14_8 Depth=1
	v_mov_b32_e32 v3, 2
	v_mov_b32_e32 v4, v7
.LBB14_38:                              ;   in Loop: Header=BB14_8 Depth=1
	s_or_b32 exec_lo, exec_lo, s0
	v_mov_b32_e32 v7, v4
	s_mov_b32 s0, -1
	s_mov_b32 s25, -1
	s_mov_b32 s1, exec_lo
	v_cmpx_gt_i32_e32 4, v3
; %bb.39:                               ;   in Loop: Header=BB14_8 Depth=1
	v_cmp_eq_u32_e32 vcc_lo, 0, v3
	s_orn2_b32 s25, vcc_lo, exec_lo
; %bb.40:                               ;   in Loop: Header=BB14_8 Depth=1
	s_or_b32 exec_lo, exec_lo, s1
	s_and_saveexec_b32 s1, s25
	s_cbranch_execz .LBB14_7
; %bb.41:                               ;   in Loop: Header=BB14_8 Depth=1
	v_add_co_u32 v0, vcc_lo, v0, 64
	v_add_co_ci_u32_e64 v1, null, 0, v1, vcc_lo
	v_cmp_le_i64_e32 vcc_lo, s[2:3], v[0:1]
	s_orn2_b32 s0, vcc_lo, exec_lo
	s_branch .LBB14_7
.LBB14_42:
	s_or_b32 exec_lo, exec_lo, s22
.LBB14_43:
	s_or_b32 exec_lo, exec_lo, s20
	v_mbcnt_lo_u32_b32 v0, -1, 0
	s_cmp_lg_u32 s10, 0
	v_or_b32_e32 v1, 32, v0
	v_xor_b32_e32 v2, 16, v0
	v_xor_b32_e32 v3, 8, v0
	v_cmp_gt_i32_e32 vcc_lo, 32, v1
	v_cndmask_b32_e32 v1, v0, v1, vcc_lo
	v_cmp_gt_i32_e32 vcc_lo, 32, v2
	v_lshlrev_b32_e32 v1, 2, v1
	v_cndmask_b32_e32 v2, v0, v2, vcc_lo
	v_cmp_gt_i32_e32 vcc_lo, 32, v3
	ds_bpermute_b32 v1, v1, v7
	v_lshlrev_b32_e32 v2, 2, v2
	v_cndmask_b32_e32 v3, v0, v3, vcc_lo
	v_lshlrev_b32_e32 v3, 2, v3
	s_waitcnt lgkmcnt(0)
	v_add_f32_e32 v1, v7, v1
	ds_bpermute_b32 v2, v2, v1
	s_waitcnt lgkmcnt(0)
	v_add_f32_e32 v1, v1, v2
	ds_bpermute_b32 v2, v3, v1
	v_xor_b32_e32 v3, 4, v0
	v_cmp_gt_i32_e32 vcc_lo, 32, v3
	v_cndmask_b32_e32 v3, v0, v3, vcc_lo
	v_lshlrev_b32_e32 v3, 2, v3
	s_waitcnt lgkmcnt(0)
	v_add_f32_e32 v1, v1, v2
	ds_bpermute_b32 v2, v3, v1
	v_xor_b32_e32 v3, 2, v0
	v_cmp_gt_i32_e32 vcc_lo, 32, v3
	v_cndmask_b32_e32 v3, v0, v3, vcc_lo
	v_lshlrev_b32_e32 v3, 2, v3
	;; [unrolled: 7-line block ×3, first 2 shown]
	s_waitcnt lgkmcnt(0)
	v_add_f32_e32 v1, v1, v2
	ds_bpermute_b32 v0, v0, v1
	s_waitcnt lgkmcnt(0)
	v_add_f32_e32 v0, v1, v0
	s_cbranch_scc1 .LBB14_45
; %bb.44:
	s_lshl_b32 s0, s11, 2
	s_waitcnt_vscnt null, 0x0
	buffer_gl0_inv
	v_mov_b32_e32 v1, s0
	ds_read_b32 v1, v1
	s_waitcnt lgkmcnt(0)
	v_mul_f32_e32 v0, v0, v1
.LBB14_45:
	s_mov_b32 s0, exec_lo
	v_cmpx_eq_u32_e32 63, v6
	s_cbranch_execz .LBB14_47
; %bb.46:
	s_lshl_b64 s[0:1], s[16:17], 2
	v_mov_b32_e32 v1, 0
	s_add_u32 s2, s12, s0
	v_mov_b32_e32 v2, 1
	s_addc_u32 s3, s13, s1
	s_add_u32 s0, s14, s0
	s_addc_u32 s1, s15, s1
	global_store_dword v1, v0, s[2:3] glc slc
	s_waitcnt_vscnt null, 0x0
	global_store_dword v1, v2, s[0:1]
.LBB14_47:
	s_endpgm
	.section	.rodata,"a",@progbits
	.p2align	6, 0x0
	.amdhsa_kernel _ZN9rocsparseL12csrsv_kernelILj1024ELj64ELb0ElifEEvT3_NS_24const_host_device_scalarIT4_EEPKT2_PKS1_PKS3_SB_lPS3_PiS9_iPS1_21rocsparse_index_base_20rocsparse_fill_mode_20rocsparse_diag_type_b
		.amdhsa_group_segment_fixed_size 64
		.amdhsa_private_segment_fixed_size 0
		.amdhsa_kernarg_size 112
		.amdhsa_user_sgpr_count 6
		.amdhsa_user_sgpr_private_segment_buffer 1
		.amdhsa_user_sgpr_dispatch_ptr 0
		.amdhsa_user_sgpr_queue_ptr 0
		.amdhsa_user_sgpr_kernarg_segment_ptr 1
		.amdhsa_user_sgpr_dispatch_id 0
		.amdhsa_user_sgpr_flat_scratch_init 0
		.amdhsa_user_sgpr_private_segment_size 0
		.amdhsa_wavefront_size32 1
		.amdhsa_uses_dynamic_stack 0
		.amdhsa_system_sgpr_private_segment_wavefront_offset 0
		.amdhsa_system_sgpr_workgroup_id_x 1
		.amdhsa_system_sgpr_workgroup_id_y 0
		.amdhsa_system_sgpr_workgroup_id_z 0
		.amdhsa_system_sgpr_workgroup_info 0
		.amdhsa_system_vgpr_workitem_id 0
		.amdhsa_next_free_vgpr 12
		.amdhsa_next_free_sgpr 28
		.amdhsa_reserve_vcc 1
		.amdhsa_reserve_flat_scratch 0
		.amdhsa_float_round_mode_32 0
		.amdhsa_float_round_mode_16_64 0
		.amdhsa_float_denorm_mode_32 3
		.amdhsa_float_denorm_mode_16_64 3
		.amdhsa_dx10_clamp 1
		.amdhsa_ieee_mode 1
		.amdhsa_fp16_overflow 0
		.amdhsa_workgroup_processor_mode 1
		.amdhsa_memory_ordered 1
		.amdhsa_forward_progress 1
		.amdhsa_shared_vgpr_count 0
		.amdhsa_exception_fp_ieee_invalid_op 0
		.amdhsa_exception_fp_denorm_src 0
		.amdhsa_exception_fp_ieee_div_zero 0
		.amdhsa_exception_fp_ieee_overflow 0
		.amdhsa_exception_fp_ieee_underflow 0
		.amdhsa_exception_fp_ieee_inexact 0
		.amdhsa_exception_int_div_zero 0
	.end_amdhsa_kernel
	.section	.text._ZN9rocsparseL12csrsv_kernelILj1024ELj64ELb0ElifEEvT3_NS_24const_host_device_scalarIT4_EEPKT2_PKS1_PKS3_SB_lPS3_PiS9_iPS1_21rocsparse_index_base_20rocsparse_fill_mode_20rocsparse_diag_type_b,"axG",@progbits,_ZN9rocsparseL12csrsv_kernelILj1024ELj64ELb0ElifEEvT3_NS_24const_host_device_scalarIT4_EEPKT2_PKS1_PKS3_SB_lPS3_PiS9_iPS1_21rocsparse_index_base_20rocsparse_fill_mode_20rocsparse_diag_type_b,comdat
.Lfunc_end14:
	.size	_ZN9rocsparseL12csrsv_kernelILj1024ELj64ELb0ElifEEvT3_NS_24const_host_device_scalarIT4_EEPKT2_PKS1_PKS3_SB_lPS3_PiS9_iPS1_21rocsparse_index_base_20rocsparse_fill_mode_20rocsparse_diag_type_b, .Lfunc_end14-_ZN9rocsparseL12csrsv_kernelILj1024ELj64ELb0ElifEEvT3_NS_24const_host_device_scalarIT4_EEPKT2_PKS1_PKS3_SB_lPS3_PiS9_iPS1_21rocsparse_index_base_20rocsparse_fill_mode_20rocsparse_diag_type_b
                                        ; -- End function
	.set _ZN9rocsparseL12csrsv_kernelILj1024ELj64ELb0ElifEEvT3_NS_24const_host_device_scalarIT4_EEPKT2_PKS1_PKS3_SB_lPS3_PiS9_iPS1_21rocsparse_index_base_20rocsparse_fill_mode_20rocsparse_diag_type_b.num_vgpr, 12
	.set _ZN9rocsparseL12csrsv_kernelILj1024ELj64ELb0ElifEEvT3_NS_24const_host_device_scalarIT4_EEPKT2_PKS1_PKS3_SB_lPS3_PiS9_iPS1_21rocsparse_index_base_20rocsparse_fill_mode_20rocsparse_diag_type_b.num_agpr, 0
	.set _ZN9rocsparseL12csrsv_kernelILj1024ELj64ELb0ElifEEvT3_NS_24const_host_device_scalarIT4_EEPKT2_PKS1_PKS3_SB_lPS3_PiS9_iPS1_21rocsparse_index_base_20rocsparse_fill_mode_20rocsparse_diag_type_b.numbered_sgpr, 28
	.set _ZN9rocsparseL12csrsv_kernelILj1024ELj64ELb0ElifEEvT3_NS_24const_host_device_scalarIT4_EEPKT2_PKS1_PKS3_SB_lPS3_PiS9_iPS1_21rocsparse_index_base_20rocsparse_fill_mode_20rocsparse_diag_type_b.num_named_barrier, 0
	.set _ZN9rocsparseL12csrsv_kernelILj1024ELj64ELb0ElifEEvT3_NS_24const_host_device_scalarIT4_EEPKT2_PKS1_PKS3_SB_lPS3_PiS9_iPS1_21rocsparse_index_base_20rocsparse_fill_mode_20rocsparse_diag_type_b.private_seg_size, 0
	.set _ZN9rocsparseL12csrsv_kernelILj1024ELj64ELb0ElifEEvT3_NS_24const_host_device_scalarIT4_EEPKT2_PKS1_PKS3_SB_lPS3_PiS9_iPS1_21rocsparse_index_base_20rocsparse_fill_mode_20rocsparse_diag_type_b.uses_vcc, 1
	.set _ZN9rocsparseL12csrsv_kernelILj1024ELj64ELb0ElifEEvT3_NS_24const_host_device_scalarIT4_EEPKT2_PKS1_PKS3_SB_lPS3_PiS9_iPS1_21rocsparse_index_base_20rocsparse_fill_mode_20rocsparse_diag_type_b.uses_flat_scratch, 0
	.set _ZN9rocsparseL12csrsv_kernelILj1024ELj64ELb0ElifEEvT3_NS_24const_host_device_scalarIT4_EEPKT2_PKS1_PKS3_SB_lPS3_PiS9_iPS1_21rocsparse_index_base_20rocsparse_fill_mode_20rocsparse_diag_type_b.has_dyn_sized_stack, 0
	.set _ZN9rocsparseL12csrsv_kernelILj1024ELj64ELb0ElifEEvT3_NS_24const_host_device_scalarIT4_EEPKT2_PKS1_PKS3_SB_lPS3_PiS9_iPS1_21rocsparse_index_base_20rocsparse_fill_mode_20rocsparse_diag_type_b.has_recursion, 0
	.set _ZN9rocsparseL12csrsv_kernelILj1024ELj64ELb0ElifEEvT3_NS_24const_host_device_scalarIT4_EEPKT2_PKS1_PKS3_SB_lPS3_PiS9_iPS1_21rocsparse_index_base_20rocsparse_fill_mode_20rocsparse_diag_type_b.has_indirect_call, 0
	.section	.AMDGPU.csdata,"",@progbits
; Kernel info:
; codeLenInByte = 1496
; TotalNumSgprs: 30
; NumVgprs: 12
; ScratchSize: 0
; MemoryBound: 0
; FloatMode: 240
; IeeeMode: 1
; LDSByteSize: 64 bytes/workgroup (compile time only)
; SGPRBlocks: 0
; VGPRBlocks: 1
; NumSGPRsForWavesPerEU: 30
; NumVGPRsForWavesPerEU: 12
; Occupancy: 16
; WaveLimiterHint : 1
; COMPUTE_PGM_RSRC2:SCRATCH_EN: 0
; COMPUTE_PGM_RSRC2:USER_SGPR: 6
; COMPUTE_PGM_RSRC2:TRAP_HANDLER: 0
; COMPUTE_PGM_RSRC2:TGID_X_EN: 1
; COMPUTE_PGM_RSRC2:TGID_Y_EN: 0
; COMPUTE_PGM_RSRC2:TGID_Z_EN: 0
; COMPUTE_PGM_RSRC2:TIDIG_COMP_CNT: 0
	.section	.text._ZN9rocsparseL12csrsv_kernelILj1024ELj64ELb1ElidEEvT3_NS_24const_host_device_scalarIT4_EEPKT2_PKS1_PKS3_SB_lPS3_PiS9_iPS1_21rocsparse_index_base_20rocsparse_fill_mode_20rocsparse_diag_type_b,"axG",@progbits,_ZN9rocsparseL12csrsv_kernelILj1024ELj64ELb1ElidEEvT3_NS_24const_host_device_scalarIT4_EEPKT2_PKS1_PKS3_SB_lPS3_PiS9_iPS1_21rocsparse_index_base_20rocsparse_fill_mode_20rocsparse_diag_type_b,comdat
	.globl	_ZN9rocsparseL12csrsv_kernelILj1024ELj64ELb1ElidEEvT3_NS_24const_host_device_scalarIT4_EEPKT2_PKS1_PKS3_SB_lPS3_PiS9_iPS1_21rocsparse_index_base_20rocsparse_fill_mode_20rocsparse_diag_type_b ; -- Begin function _ZN9rocsparseL12csrsv_kernelILj1024ELj64ELb1ElidEEvT3_NS_24const_host_device_scalarIT4_EEPKT2_PKS1_PKS3_SB_lPS3_PiS9_iPS1_21rocsparse_index_base_20rocsparse_fill_mode_20rocsparse_diag_type_b
	.p2align	8
	.type	_ZN9rocsparseL12csrsv_kernelILj1024ELj64ELb1ElidEEvT3_NS_24const_host_device_scalarIT4_EEPKT2_PKS1_PKS3_SB_lPS3_PiS9_iPS1_21rocsparse_index_base_20rocsparse_fill_mode_20rocsparse_diag_type_b,@function
_ZN9rocsparseL12csrsv_kernelILj1024ELj64ELb1ElidEEvT3_NS_24const_host_device_scalarIT4_EEPKT2_PKS1_PKS3_SB_lPS3_PiS9_iPS1_21rocsparse_index_base_20rocsparse_fill_mode_20rocsparse_diag_type_b: ; @_ZN9rocsparseL12csrsv_kernelILj1024ELj64ELb1ElidEEvT3_NS_24const_host_device_scalarIT4_EEPKT2_PKS1_PKS3_SB_lPS3_PiS9_iPS1_21rocsparse_index_base_20rocsparse_fill_mode_20rocsparse_diag_type_b
; %bb.0:
	s_clause 0x1
	s_load_dwordx4 s[8:11], s[4:5], 0x60
	s_load_dwordx2 s[0:1], s[4:5], 0x8
	s_waitcnt lgkmcnt(0)
	s_bitcmp1_b32 s11, 0
	v_mov_b32_e32 v3, s1
	v_mov_b32_e32 v2, s0
	s_cselect_b32 s2, -1, 0
	s_and_b32 vcc_lo, exec_lo, s2
	s_cbranch_vccnz .LBB15_2
; %bb.1:
	v_mov_b32_e32 v2, s1
	v_mov_b32_e32 v1, s0
	flat_load_dwordx2 v[2:3], v[1:2]
.LBB15_2:
	s_load_dword s1, s[4:5], 0x0
	v_readfirstlane_b32 s0, v0
	s_lshr_b32 s11, s0, 6
	s_lshl_b32 s0, s6, 4
	s_add_i32 s0, s11, s0
	s_waitcnt lgkmcnt(0)
	s_cmp_ge_i32 s0, s1
	s_cbranch_scc1 .LBB15_49
; %bb.3:
	s_clause 0x2
	s_load_dword s1, s[4:5], 0x50
	s_load_dwordx2 s[2:3], s[4:5], 0x48
	s_load_dwordx4 s[12:15], s[4:5], 0x38
	v_and_b32_e32 v10, 63, v0
	v_mov_b32_e32 v0, 0
	v_mov_b32_e32 v1, 0
	s_mov_b32 s6, exec_lo
	s_waitcnt lgkmcnt(0)
	s_add_i32 s0, s0, s1
	s_ashr_i32 s1, s0, 31
	s_lshl_b64 s[0:1], s[0:1], 2
	s_add_u32 s0, s2, s0
	s_addc_u32 s1, s3, s1
	s_load_dword s16, s[0:1], 0x0
	s_load_dwordx2 s[0:1], s[4:5], 0x10
	s_waitcnt lgkmcnt(0)
	s_ashr_i32 s17, s16, 31
	s_lshl_b64 s[18:19], s[16:17], 3
	s_add_u32 s0, s0, s18
	s_addc_u32 s1, s1, s19
	s_load_dwordx4 s[0:3], s[0:1], 0x0
	v_cmpx_eq_u32_e32 0, v10
	s_cbranch_execz .LBB15_5
; %bb.4:
	s_load_dwordx4 s[20:23], s[4:5], 0x28
	s_waitcnt lgkmcnt(0)
	s_mul_i32 s7, s22, s17
	s_mul_hi_u32 s24, s22, s16
	s_mul_i32 s23, s23, s16
	s_add_i32 s7, s24, s7
	s_mul_i32 s22, s22, s16
	s_add_i32 s23, s7, s23
	s_lshl_b64 s[22:23], s[22:23], 3
	s_add_u32 s20, s20, s22
	s_addc_u32 s21, s21, s23
	s_load_dwordx2 s[20:21], s[20:21], 0x0
	s_waitcnt vmcnt(0) lgkmcnt(0)
	v_mul_f64 v[0:1], v[2:3], s[20:21]
.LBB15_5:
	s_or_b32 exec_lo, exec_lo, s6
	s_waitcnt vmcnt(0)
	v_sub_co_u32 v2, s6, v10, s8
	v_sub_co_ci_u32_e64 v3, null, 0, 0, s6
	v_mov_b32_e32 v11, 0
	s_waitcnt lgkmcnt(0)
	v_add_co_u32 v2, vcc_lo, s0, v2
	v_add_co_ci_u32_e64 v3, null, s1, v3, vcc_lo
	s_sub_u32 s2, s2, s8
	s_subb_u32 s3, s3, 0
	s_mov_b32 s22, exec_lo
	v_cmpx_gt_i64_e64 s[2:3], v[2:3]
	s_cbranch_execz .LBB15_45
; %bb.6:
	s_clause 0x1
	s_load_dwordx2 s[20:21], s[4:5], 0x58
	s_load_dwordx4 s[4:7], s[4:5], 0x18
	s_cmp_eq_u32 s10, 0
	s_mov_b32 s24, 0
	s_cselect_b32 s23, -1, 0
	s_add_i32 s25, s16, s8
	s_lshl_b32 s26, s11, 3
	s_branch .LBB15_8
.LBB15_7:                               ;   in Loop: Header=BB15_8 Depth=1
	s_or_b32 exec_lo, exec_lo, s1
	s_and_b32 s0, exec_lo, s0
	s_or_b32 s24, s0, s24
	s_andn2_b32 exec_lo, exec_lo, s24
	s_cbranch_execz .LBB15_44
.LBB15_8:                               ; =>This Loop Header: Depth=1
                                        ;     Child Loop BB15_33 Depth 2
                                        ;       Child Loop BB15_34 Depth 3
	v_lshlrev_b64 v[4:5], 3, v[2:3]
	v_lshlrev_b64 v[6:7], 2, v[2:3]
	s_waitcnt lgkmcnt(0)
	v_add_co_u32 v4, vcc_lo, s6, v4
	v_add_co_ci_u32_e64 v5, null, s7, v5, vcc_lo
	v_add_co_u32 v6, vcc_lo, s4, v6
	v_add_co_ci_u32_e64 v7, null, s5, v7, vcc_lo
	global_load_dwordx2 v[4:5], v[4:5], off slc
	global_load_dword v6, v[6:7], off slc
	s_waitcnt vmcnt(1)
	v_cmp_eq_f64_e64 s1, 0, v[4:5]
	s_waitcnt vmcnt(0)
	v_subrev_nc_u32_e32 v6, s8, v6
	v_cmp_eq_u32_e32 vcc_lo, s16, v6
	v_cmp_ne_u32_e64 s0, s16, v6
	s_and_b32 s27, s23, vcc_lo
	s_and_b32 s1, s1, s27
	s_and_saveexec_b32 s27, s1
	s_cbranch_execz .LBB15_12
; %bb.9:                                ;   in Loop: Header=BB15_8 Depth=1
	v_mbcnt_lo_u32_b32 v4, exec_lo, 0
	s_mov_b32 s28, exec_lo
	v_cmpx_eq_u32_e32 0, v4
	s_cbranch_execz .LBB15_11
; %bb.10:                               ;   in Loop: Header=BB15_8 Depth=1
	v_mov_b32_e32 v4, s25
	global_atomic_smin v11, v4, s[20:21]
.LBB15_11:                              ;   in Loop: Header=BB15_8 Depth=1
	s_or_b32 exec_lo, exec_lo, s28
	v_mov_b32_e32 v4, 0
	v_mov_b32_e32 v5, 0x3ff00000
.LBB15_12:                              ;   in Loop: Header=BB15_8 Depth=1
	s_or_b32 exec_lo, exec_lo, s27
	s_mov_b32 s1, -1
	s_mov_b32 s27, 0
	s_cmp_lt_i32 s9, 1
	s_mov_b32 s28, 0
	s_cbranch_scc1 .LBB15_22
; %bb.13:                               ;   in Loop: Header=BB15_8 Depth=1
	s_cmp_eq_u32 s9, 1
	s_mov_b32 s28, -1
	s_cbranch_scc0 .LBB15_21
; %bb.14:                               ;   in Loop: Header=BB15_8 Depth=1
	s_mov_b32 s28, 0
	s_mov_b32 s29, exec_lo
	v_cmpx_le_i32_e64 s16, v6
	s_cbranch_execz .LBB15_20
; %bb.15:                               ;   in Loop: Header=BB15_8 Depth=1
	s_mov_b32 s28, -1
	s_and_saveexec_b32 s1, vcc_lo
	s_xor_b32 s1, exec_lo, s1
	s_cbranch_execz .LBB15_19
; %bb.16:                               ;   in Loop: Header=BB15_8 Depth=1
	s_andn2_b32 vcc_lo, exec_lo, s23
	s_cbranch_vccnz .LBB15_18
; %bb.17:                               ;   in Loop: Header=BB15_8 Depth=1
	v_div_scale_f64 v[7:8], null, v[4:5], v[4:5], 1.0
	v_mov_b32_e32 v9, s26
	v_rcp_f64_e32 v[12:13], v[7:8]
	v_fma_f64 v[14:15], -v[7:8], v[12:13], 1.0
	v_fma_f64 v[12:13], v[12:13], v[14:15], v[12:13]
	v_fma_f64 v[14:15], -v[7:8], v[12:13], 1.0
	v_fma_f64 v[12:13], v[12:13], v[14:15], v[12:13]
	v_div_scale_f64 v[14:15], vcc_lo, 1.0, v[4:5], 1.0
	v_mul_f64 v[16:17], v[14:15], v[12:13]
	v_fma_f64 v[7:8], -v[7:8], v[16:17], v[14:15]
	v_div_fmas_f64 v[7:8], v[7:8], v[12:13], v[16:17]
	v_div_fixup_f64 v[7:8], v[7:8], v[4:5], 1.0
	ds_write_b64 v9, v[7:8]
.LBB15_18:                              ;   in Loop: Header=BB15_8 Depth=1
	s_xor_b32 s28, exec_lo, -1
.LBB15_19:                              ;   in Loop: Header=BB15_8 Depth=1
	s_or_b32 exec_lo, exec_lo, s1
	s_and_b32 s28, s28, exec_lo
.LBB15_20:                              ;   in Loop: Header=BB15_8 Depth=1
	s_or_b32 exec_lo, exec_lo, s29
.LBB15_21:                              ;   in Loop: Header=BB15_8 Depth=1
	s_mov_b32 s1, 0
.LBB15_22:                              ;   in Loop: Header=BB15_8 Depth=1
	s_and_b32 vcc_lo, exec_lo, s1
	s_mov_b32 s1, 4
	s_cbranch_vccz .LBB15_29
; %bb.23:                               ;   in Loop: Header=BB15_8 Depth=1
	s_cmp_eq_u32 s9, 0
	s_cbranch_scc1 .LBB15_25
; %bb.24:                               ;   in Loop: Header=BB15_8 Depth=1
	s_mov_b32 s28, -1
	s_branch .LBB15_28
.LBB15_25:                              ;   in Loop: Header=BB15_8 Depth=1
	s_mov_b32 s28, 0
	s_mov_b32 s1, exec_lo
	v_cmpx_ge_i32_e64 s16, v6
; %bb.26:                               ;   in Loop: Header=BB15_8 Depth=1
	s_mov_b32 s27, exec_lo
	s_and_b32 s28, s0, exec_lo
; %bb.27:                               ;   in Loop: Header=BB15_8 Depth=1
	s_or_b32 exec_lo, exec_lo, s1
.LBB15_28:                              ;   in Loop: Header=BB15_8 Depth=1
	s_mov_b32 s1, 2
.LBB15_29:                              ;   in Loop: Header=BB15_8 Depth=1
	v_mov_b32_e32 v8, v1
	v_mov_b32_e32 v9, s1
	;; [unrolled: 1-line block ×3, first 2 shown]
	s_and_saveexec_b32 s0, s28
	s_cbranch_execz .LBB15_36
; %bb.30:                               ;   in Loop: Header=BB15_8 Depth=1
	v_ashrrev_i32_e32 v7, 31, v6
	s_mov_b32 s1, exec_lo
	v_lshlrev_b64 v[8:9], 2, v[6:7]
	v_add_co_u32 v8, vcc_lo, s14, v8
	v_add_co_ci_u32_e64 v9, null, s15, v9, vcc_lo
	global_load_dword v12, v[8:9], off glc dlc
	s_waitcnt vmcnt(0)
	v_cmpx_eq_u32_e32 0, v12
	s_cbranch_execz .LBB15_35
; %bb.31:                               ;   in Loop: Header=BB15_8 Depth=1
	s_mov_b32 s28, 0
	s_mov_b32 s29, 0
	s_branch .LBB15_33
	.p2align	6
.LBB15_32:                              ;   in Loop: Header=BB15_33 Depth=2
	global_load_dword v12, v[8:9], off glc dlc
	s_cmpk_lt_u32 s29, 0xf43
	s_cselect_b32 s30, -1, 0
	s_cmp_lg_u32 s30, 0
	s_addc_u32 s29, s29, 0
	s_waitcnt vmcnt(0)
	v_cmp_ne_u32_e32 vcc_lo, 0, v12
	s_or_b32 s28, vcc_lo, s28
	s_andn2_b32 exec_lo, exec_lo, s28
	s_cbranch_execz .LBB15_35
.LBB15_33:                              ;   Parent Loop BB15_8 Depth=1
                                        ; =>  This Loop Header: Depth=2
                                        ;       Child Loop BB15_34 Depth 3
	s_cmp_eq_u32 s29, 0
	s_mov_b32 s30, s29
	s_cbranch_scc1 .LBB15_32
.LBB15_34:                              ;   Parent Loop BB15_8 Depth=1
                                        ;     Parent Loop BB15_33 Depth=2
                                        ; =>    This Inner Loop Header: Depth=3
	s_add_i32 s30, s30, -1
	s_sleep 1
	s_cmp_eq_u32 s30, 0
	s_cbranch_scc0 .LBB15_34
	s_branch .LBB15_32
.LBB15_35:                              ;   in Loop: Header=BB15_8 Depth=1
	s_or_b32 exec_lo, exec_lo, s1
	v_lshlrev_b64 v[6:7], 3, v[6:7]
	s_waitcnt lgkmcnt(0)
	s_waitcnt_vscnt null, 0x0
	buffer_gl1_inv
	buffer_gl0_inv
	v_mov_b32_e32 v9, 0
	s_andn2_b32 s27, s27, exec_lo
	v_add_co_u32 v6, vcc_lo, s12, v6
	v_add_co_ci_u32_e64 v7, null, s13, v7, vcc_lo
	global_load_dwordx2 v[6:7], v[6:7], off
	s_waitcnt vmcnt(0)
	v_fma_f64 v[7:8], -v[4:5], v[6:7], v[0:1]
.LBB15_36:                              ;   in Loop: Header=BB15_8 Depth=1
	s_or_b32 exec_lo, exec_lo, s0
	s_and_saveexec_b32 s0, s27
	s_cbranch_execz .LBB15_40
; %bb.37:                               ;   in Loop: Header=BB15_8 Depth=1
	s_andn2_b32 vcc_lo, exec_lo, s23
	s_cbranch_vccnz .LBB15_39
; %bb.38:                               ;   in Loop: Header=BB15_8 Depth=1
	v_div_scale_f64 v[6:7], null, v[4:5], v[4:5], 1.0
	v_rcp_f64_e32 v[8:9], v[6:7]
	v_fma_f64 v[12:13], -v[6:7], v[8:9], 1.0
	v_fma_f64 v[8:9], v[8:9], v[12:13], v[8:9]
	v_fma_f64 v[12:13], -v[6:7], v[8:9], 1.0
	v_fma_f64 v[8:9], v[8:9], v[12:13], v[8:9]
	v_div_scale_f64 v[12:13], vcc_lo, 1.0, v[4:5], 1.0
	v_mul_f64 v[14:15], v[12:13], v[8:9]
	v_fma_f64 v[6:7], -v[6:7], v[14:15], v[12:13]
	v_div_fmas_f64 v[6:7], v[6:7], v[8:9], v[14:15]
	v_div_fixup_f64 v[4:5], v[6:7], v[4:5], 1.0
	v_mov_b32_e32 v6, s26
	ds_write_b64 v6, v[4:5]
.LBB15_39:                              ;   in Loop: Header=BB15_8 Depth=1
	v_mov_b32_e32 v8, v1
	v_mov_b32_e32 v9, 2
	;; [unrolled: 1-line block ×3, first 2 shown]
.LBB15_40:                              ;   in Loop: Header=BB15_8 Depth=1
	s_or_b32 exec_lo, exec_lo, s0
	v_mov_b32_e32 v0, v7
	v_mov_b32_e32 v1, v8
	s_mov_b32 s0, -1
	s_mov_b32 s27, -1
	s_mov_b32 s1, exec_lo
	v_cmpx_gt_i32_e32 4, v9
; %bb.41:                               ;   in Loop: Header=BB15_8 Depth=1
	v_cmp_eq_u32_e32 vcc_lo, 0, v9
	s_orn2_b32 s27, vcc_lo, exec_lo
; %bb.42:                               ;   in Loop: Header=BB15_8 Depth=1
	s_or_b32 exec_lo, exec_lo, s1
	s_and_saveexec_b32 s1, s27
	s_cbranch_execz .LBB15_7
; %bb.43:                               ;   in Loop: Header=BB15_8 Depth=1
	v_add_co_u32 v2, vcc_lo, v2, 64
	v_add_co_ci_u32_e64 v3, null, 0, v3, vcc_lo
	v_cmp_le_i64_e32 vcc_lo, s[2:3], v[2:3]
	s_orn2_b32 s0, vcc_lo, exec_lo
	s_branch .LBB15_7
.LBB15_44:
	s_or_b32 exec_lo, exec_lo, s24
.LBB15_45:
	s_or_b32 exec_lo, exec_lo, s22
	v_mbcnt_lo_u32_b32 v4, -1, 0
	s_cmp_lg_u32 s10, 0
	v_or_b32_e32 v2, 32, v4
	v_cmp_gt_i32_e32 vcc_lo, 32, v2
	v_cndmask_b32_e32 v2, v4, v2, vcc_lo
	v_lshlrev_b32_e32 v3, 2, v2
	ds_bpermute_b32 v2, v3, v0
	ds_bpermute_b32 v3, v3, v1
	s_waitcnt lgkmcnt(0)
	v_add_f64 v[0:1], v[0:1], v[2:3]
	v_xor_b32_e32 v2, 16, v4
	v_cmp_gt_i32_e32 vcc_lo, 32, v2
	v_cndmask_b32_e32 v2, v4, v2, vcc_lo
	v_lshlrev_b32_e32 v3, 2, v2
	ds_bpermute_b32 v2, v3, v0
	ds_bpermute_b32 v3, v3, v1
	s_waitcnt lgkmcnt(0)
	v_add_f64 v[0:1], v[0:1], v[2:3]
	v_xor_b32_e32 v2, 8, v4
	;; [unrolled: 8-line block ×5, first 2 shown]
	v_cmp_gt_i32_e32 vcc_lo, 32, v2
	v_cndmask_b32_e32 v2, v4, v2, vcc_lo
	v_lshlrev_b32_e32 v3, 2, v2
	ds_bpermute_b32 v2, v3, v0
	ds_bpermute_b32 v3, v3, v1
	s_waitcnt lgkmcnt(0)
	v_add_f64 v[0:1], v[0:1], v[2:3]
	s_cbranch_scc1 .LBB15_47
; %bb.46:
	s_lshl_b32 s0, s11, 3
	s_waitcnt_vscnt null, 0x0
	buffer_gl0_inv
	v_mov_b32_e32 v2, s0
	ds_read_b64 v[2:3], v2
	s_waitcnt lgkmcnt(0)
	v_mul_f64 v[0:1], v[0:1], v[2:3]
.LBB15_47:
	s_mov_b32 s0, exec_lo
	v_cmpx_eq_u32_e32 63, v10
	s_cbranch_execz .LBB15_49
; %bb.48:
	s_add_u32 s0, s12, s18
	v_mov_b32_e32 v2, 0
	s_addc_u32 s1, s13, s19
	s_lshl_b64 s[2:3], s[16:17], 2
	v_mov_b32_e32 v3, 1
	s_add_u32 s2, s14, s2
	s_addc_u32 s3, s15, s3
	global_store_dwordx2 v2, v[0:1], s[0:1] glc slc
	s_waitcnt_vscnt null, 0x0
	global_store_dword v2, v3, s[2:3]
.LBB15_49:
	s_endpgm
	.section	.rodata,"a",@progbits
	.p2align	6, 0x0
	.amdhsa_kernel _ZN9rocsparseL12csrsv_kernelILj1024ELj64ELb1ElidEEvT3_NS_24const_host_device_scalarIT4_EEPKT2_PKS1_PKS3_SB_lPS3_PiS9_iPS1_21rocsparse_index_base_20rocsparse_fill_mode_20rocsparse_diag_type_b
		.amdhsa_group_segment_fixed_size 128
		.amdhsa_private_segment_fixed_size 0
		.amdhsa_kernarg_size 112
		.amdhsa_user_sgpr_count 6
		.amdhsa_user_sgpr_private_segment_buffer 1
		.amdhsa_user_sgpr_dispatch_ptr 0
		.amdhsa_user_sgpr_queue_ptr 0
		.amdhsa_user_sgpr_kernarg_segment_ptr 1
		.amdhsa_user_sgpr_dispatch_id 0
		.amdhsa_user_sgpr_flat_scratch_init 0
		.amdhsa_user_sgpr_private_segment_size 0
		.amdhsa_wavefront_size32 1
		.amdhsa_uses_dynamic_stack 0
		.amdhsa_system_sgpr_private_segment_wavefront_offset 0
		.amdhsa_system_sgpr_workgroup_id_x 1
		.amdhsa_system_sgpr_workgroup_id_y 0
		.amdhsa_system_sgpr_workgroup_id_z 0
		.amdhsa_system_sgpr_workgroup_info 0
		.amdhsa_system_vgpr_workitem_id 0
		.amdhsa_next_free_vgpr 18
		.amdhsa_next_free_sgpr 31
		.amdhsa_reserve_vcc 1
		.amdhsa_reserve_flat_scratch 0
		.amdhsa_float_round_mode_32 0
		.amdhsa_float_round_mode_16_64 0
		.amdhsa_float_denorm_mode_32 3
		.amdhsa_float_denorm_mode_16_64 3
		.amdhsa_dx10_clamp 1
		.amdhsa_ieee_mode 1
		.amdhsa_fp16_overflow 0
		.amdhsa_workgroup_processor_mode 1
		.amdhsa_memory_ordered 1
		.amdhsa_forward_progress 1
		.amdhsa_shared_vgpr_count 0
		.amdhsa_exception_fp_ieee_invalid_op 0
		.amdhsa_exception_fp_denorm_src 0
		.amdhsa_exception_fp_ieee_div_zero 0
		.amdhsa_exception_fp_ieee_overflow 0
		.amdhsa_exception_fp_ieee_underflow 0
		.amdhsa_exception_fp_ieee_inexact 0
		.amdhsa_exception_int_div_zero 0
	.end_amdhsa_kernel
	.section	.text._ZN9rocsparseL12csrsv_kernelILj1024ELj64ELb1ElidEEvT3_NS_24const_host_device_scalarIT4_EEPKT2_PKS1_PKS3_SB_lPS3_PiS9_iPS1_21rocsparse_index_base_20rocsparse_fill_mode_20rocsparse_diag_type_b,"axG",@progbits,_ZN9rocsparseL12csrsv_kernelILj1024ELj64ELb1ElidEEvT3_NS_24const_host_device_scalarIT4_EEPKT2_PKS1_PKS3_SB_lPS3_PiS9_iPS1_21rocsparse_index_base_20rocsparse_fill_mode_20rocsparse_diag_type_b,comdat
.Lfunc_end15:
	.size	_ZN9rocsparseL12csrsv_kernelILj1024ELj64ELb1ElidEEvT3_NS_24const_host_device_scalarIT4_EEPKT2_PKS1_PKS3_SB_lPS3_PiS9_iPS1_21rocsparse_index_base_20rocsparse_fill_mode_20rocsparse_diag_type_b, .Lfunc_end15-_ZN9rocsparseL12csrsv_kernelILj1024ELj64ELb1ElidEEvT3_NS_24const_host_device_scalarIT4_EEPKT2_PKS1_PKS3_SB_lPS3_PiS9_iPS1_21rocsparse_index_base_20rocsparse_fill_mode_20rocsparse_diag_type_b
                                        ; -- End function
	.set _ZN9rocsparseL12csrsv_kernelILj1024ELj64ELb1ElidEEvT3_NS_24const_host_device_scalarIT4_EEPKT2_PKS1_PKS3_SB_lPS3_PiS9_iPS1_21rocsparse_index_base_20rocsparse_fill_mode_20rocsparse_diag_type_b.num_vgpr, 18
	.set _ZN9rocsparseL12csrsv_kernelILj1024ELj64ELb1ElidEEvT3_NS_24const_host_device_scalarIT4_EEPKT2_PKS1_PKS3_SB_lPS3_PiS9_iPS1_21rocsparse_index_base_20rocsparse_fill_mode_20rocsparse_diag_type_b.num_agpr, 0
	.set _ZN9rocsparseL12csrsv_kernelILj1024ELj64ELb1ElidEEvT3_NS_24const_host_device_scalarIT4_EEPKT2_PKS1_PKS3_SB_lPS3_PiS9_iPS1_21rocsparse_index_base_20rocsparse_fill_mode_20rocsparse_diag_type_b.numbered_sgpr, 31
	.set _ZN9rocsparseL12csrsv_kernelILj1024ELj64ELb1ElidEEvT3_NS_24const_host_device_scalarIT4_EEPKT2_PKS1_PKS3_SB_lPS3_PiS9_iPS1_21rocsparse_index_base_20rocsparse_fill_mode_20rocsparse_diag_type_b.num_named_barrier, 0
	.set _ZN9rocsparseL12csrsv_kernelILj1024ELj64ELb1ElidEEvT3_NS_24const_host_device_scalarIT4_EEPKT2_PKS1_PKS3_SB_lPS3_PiS9_iPS1_21rocsparse_index_base_20rocsparse_fill_mode_20rocsparse_diag_type_b.private_seg_size, 0
	.set _ZN9rocsparseL12csrsv_kernelILj1024ELj64ELb1ElidEEvT3_NS_24const_host_device_scalarIT4_EEPKT2_PKS1_PKS3_SB_lPS3_PiS9_iPS1_21rocsparse_index_base_20rocsparse_fill_mode_20rocsparse_diag_type_b.uses_vcc, 1
	.set _ZN9rocsparseL12csrsv_kernelILj1024ELj64ELb1ElidEEvT3_NS_24const_host_device_scalarIT4_EEPKT2_PKS1_PKS3_SB_lPS3_PiS9_iPS1_21rocsparse_index_base_20rocsparse_fill_mode_20rocsparse_diag_type_b.uses_flat_scratch, 0
	.set _ZN9rocsparseL12csrsv_kernelILj1024ELj64ELb1ElidEEvT3_NS_24const_host_device_scalarIT4_EEPKT2_PKS1_PKS3_SB_lPS3_PiS9_iPS1_21rocsparse_index_base_20rocsparse_fill_mode_20rocsparse_diag_type_b.has_dyn_sized_stack, 0
	.set _ZN9rocsparseL12csrsv_kernelILj1024ELj64ELb1ElidEEvT3_NS_24const_host_device_scalarIT4_EEPKT2_PKS1_PKS3_SB_lPS3_PiS9_iPS1_21rocsparse_index_base_20rocsparse_fill_mode_20rocsparse_diag_type_b.has_recursion, 0
	.set _ZN9rocsparseL12csrsv_kernelILj1024ELj64ELb1ElidEEvT3_NS_24const_host_device_scalarIT4_EEPKT2_PKS1_PKS3_SB_lPS3_PiS9_iPS1_21rocsparse_index_base_20rocsparse_fill_mode_20rocsparse_diag_type_b.has_indirect_call, 0
	.section	.AMDGPU.csdata,"",@progbits
; Kernel info:
; codeLenInByte = 1712
; TotalNumSgprs: 33
; NumVgprs: 18
; ScratchSize: 0
; MemoryBound: 0
; FloatMode: 240
; IeeeMode: 1
; LDSByteSize: 128 bytes/workgroup (compile time only)
; SGPRBlocks: 0
; VGPRBlocks: 2
; NumSGPRsForWavesPerEU: 33
; NumVGPRsForWavesPerEU: 18
; Occupancy: 16
; WaveLimiterHint : 1
; COMPUTE_PGM_RSRC2:SCRATCH_EN: 0
; COMPUTE_PGM_RSRC2:USER_SGPR: 6
; COMPUTE_PGM_RSRC2:TRAP_HANDLER: 0
; COMPUTE_PGM_RSRC2:TGID_X_EN: 1
; COMPUTE_PGM_RSRC2:TGID_Y_EN: 0
; COMPUTE_PGM_RSRC2:TGID_Z_EN: 0
; COMPUTE_PGM_RSRC2:TIDIG_COMP_CNT: 0
	.section	.text._ZN9rocsparseL12csrsv_kernelILj1024ELj32ELb0ElidEEvT3_NS_24const_host_device_scalarIT4_EEPKT2_PKS1_PKS3_SB_lPS3_PiS9_iPS1_21rocsparse_index_base_20rocsparse_fill_mode_20rocsparse_diag_type_b,"axG",@progbits,_ZN9rocsparseL12csrsv_kernelILj1024ELj32ELb0ElidEEvT3_NS_24const_host_device_scalarIT4_EEPKT2_PKS1_PKS3_SB_lPS3_PiS9_iPS1_21rocsparse_index_base_20rocsparse_fill_mode_20rocsparse_diag_type_b,comdat
	.globl	_ZN9rocsparseL12csrsv_kernelILj1024ELj32ELb0ElidEEvT3_NS_24const_host_device_scalarIT4_EEPKT2_PKS1_PKS3_SB_lPS3_PiS9_iPS1_21rocsparse_index_base_20rocsparse_fill_mode_20rocsparse_diag_type_b ; -- Begin function _ZN9rocsparseL12csrsv_kernelILj1024ELj32ELb0ElidEEvT3_NS_24const_host_device_scalarIT4_EEPKT2_PKS1_PKS3_SB_lPS3_PiS9_iPS1_21rocsparse_index_base_20rocsparse_fill_mode_20rocsparse_diag_type_b
	.p2align	8
	.type	_ZN9rocsparseL12csrsv_kernelILj1024ELj32ELb0ElidEEvT3_NS_24const_host_device_scalarIT4_EEPKT2_PKS1_PKS3_SB_lPS3_PiS9_iPS1_21rocsparse_index_base_20rocsparse_fill_mode_20rocsparse_diag_type_b,@function
_ZN9rocsparseL12csrsv_kernelILj1024ELj32ELb0ElidEEvT3_NS_24const_host_device_scalarIT4_EEPKT2_PKS1_PKS3_SB_lPS3_PiS9_iPS1_21rocsparse_index_base_20rocsparse_fill_mode_20rocsparse_diag_type_b: ; @_ZN9rocsparseL12csrsv_kernelILj1024ELj32ELb0ElidEEvT3_NS_24const_host_device_scalarIT4_EEPKT2_PKS1_PKS3_SB_lPS3_PiS9_iPS1_21rocsparse_index_base_20rocsparse_fill_mode_20rocsparse_diag_type_b
; %bb.0:
	s_clause 0x1
	s_load_dwordx4 s[8:11], s[4:5], 0x60
	s_load_dwordx2 s[0:1], s[4:5], 0x8
	s_waitcnt lgkmcnt(0)
	s_bitcmp1_b32 s11, 0
	v_mov_b32_e32 v3, s1
	v_mov_b32_e32 v2, s0
	s_cselect_b32 s2, -1, 0
	s_and_b32 vcc_lo, exec_lo, s2
	s_cbranch_vccnz .LBB16_2
; %bb.1:
	v_mov_b32_e32 v2, s1
	v_mov_b32_e32 v1, s0
	flat_load_dwordx2 v[2:3], v[1:2]
.LBB16_2:
	s_load_dword s1, s[4:5], 0x0
	v_readfirstlane_b32 s0, v0
	s_lshr_b32 s11, s0, 5
	s_lshl_b32 s0, s6, 5
	s_add_i32 s0, s11, s0
	s_waitcnt lgkmcnt(0)
	s_cmp_ge_i32 s0, s1
	s_cbranch_scc1 .LBB16_47
; %bb.3:
	s_clause 0x2
	s_load_dword s1, s[4:5], 0x50
	s_load_dwordx2 s[2:3], s[4:5], 0x48
	s_load_dwordx4 s[12:15], s[4:5], 0x38
	v_and_b32_e32 v10, 31, v0
	v_mov_b32_e32 v0, 0
	v_mov_b32_e32 v1, 0
	s_mov_b32 s6, exec_lo
	s_waitcnt lgkmcnt(0)
	s_add_i32 s0, s0, s1
	s_ashr_i32 s1, s0, 31
	s_lshl_b64 s[0:1], s[0:1], 2
	s_add_u32 s0, s2, s0
	s_addc_u32 s1, s3, s1
	s_load_dword s16, s[0:1], 0x0
	s_load_dwordx2 s[0:1], s[4:5], 0x10
	s_waitcnt lgkmcnt(0)
	s_ashr_i32 s17, s16, 31
	s_lshl_b64 s[18:19], s[16:17], 3
	s_add_u32 s0, s0, s18
	s_addc_u32 s1, s1, s19
	s_load_dwordx4 s[0:3], s[0:1], 0x0
	v_cmpx_eq_u32_e32 0, v10
	s_cbranch_execz .LBB16_5
; %bb.4:
	s_load_dwordx4 s[20:23], s[4:5], 0x28
	s_waitcnt lgkmcnt(0)
	s_mul_i32 s7, s22, s17
	s_mul_hi_u32 s24, s22, s16
	s_mul_i32 s23, s23, s16
	s_add_i32 s7, s24, s7
	s_mul_i32 s22, s22, s16
	s_add_i32 s23, s7, s23
	s_lshl_b64 s[22:23], s[22:23], 3
	s_add_u32 s20, s20, s22
	s_addc_u32 s21, s21, s23
	s_load_dwordx2 s[20:21], s[20:21], 0x0
	s_waitcnt vmcnt(0) lgkmcnt(0)
	v_mul_f64 v[0:1], v[2:3], s[20:21]
.LBB16_5:
	s_or_b32 exec_lo, exec_lo, s6
	s_waitcnt vmcnt(0)
	v_sub_co_u32 v2, s6, v10, s8
	v_sub_co_ci_u32_e64 v3, null, 0, 0, s6
	v_mov_b32_e32 v11, 0
	s_waitcnt lgkmcnt(0)
	v_add_co_u32 v2, vcc_lo, s0, v2
	v_add_co_ci_u32_e64 v3, null, s1, v3, vcc_lo
	s_sub_u32 s2, s2, s8
	s_subb_u32 s3, s3, 0
	s_mov_b32 s22, exec_lo
	v_cmpx_gt_i64_e64 s[2:3], v[2:3]
	s_cbranch_execz .LBB16_43
; %bb.6:
	s_clause 0x1
	s_load_dwordx2 s[20:21], s[4:5], 0x58
	s_load_dwordx4 s[4:7], s[4:5], 0x18
	s_cmp_eq_u32 s10, 0
	s_mov_b32 s24, 0
	s_cselect_b32 s23, -1, 0
	s_add_i32 s25, s16, s8
	s_lshl_b32 s26, s11, 3
	s_branch .LBB16_8
.LBB16_7:                               ;   in Loop: Header=BB16_8 Depth=1
	s_or_b32 exec_lo, exec_lo, s1
	s_and_b32 s0, exec_lo, s0
	s_or_b32 s24, s0, s24
	s_andn2_b32 exec_lo, exec_lo, s24
	s_cbranch_execz .LBB16_42
.LBB16_8:                               ; =>This Loop Header: Depth=1
                                        ;     Child Loop BB16_32 Depth 2
	v_lshlrev_b64 v[4:5], 3, v[2:3]
	v_lshlrev_b64 v[6:7], 2, v[2:3]
	s_waitcnt lgkmcnt(0)
	v_add_co_u32 v4, vcc_lo, s6, v4
	v_add_co_ci_u32_e64 v5, null, s7, v5, vcc_lo
	v_add_co_u32 v6, vcc_lo, s4, v6
	v_add_co_ci_u32_e64 v7, null, s5, v7, vcc_lo
	global_load_dwordx2 v[4:5], v[4:5], off slc
	global_load_dword v6, v[6:7], off slc
	s_waitcnt vmcnt(1)
	v_cmp_eq_f64_e64 s1, 0, v[4:5]
	s_waitcnt vmcnt(0)
	v_subrev_nc_u32_e32 v6, s8, v6
	v_cmp_eq_u32_e32 vcc_lo, s16, v6
	v_cmp_ne_u32_e64 s0, s16, v6
	s_and_b32 s27, s23, vcc_lo
	s_and_b32 s1, s1, s27
	s_and_saveexec_b32 s27, s1
	s_cbranch_execz .LBB16_12
; %bb.9:                                ;   in Loop: Header=BB16_8 Depth=1
	v_mbcnt_lo_u32_b32 v4, exec_lo, 0
	s_mov_b32 s28, exec_lo
	v_cmpx_eq_u32_e32 0, v4
	s_cbranch_execz .LBB16_11
; %bb.10:                               ;   in Loop: Header=BB16_8 Depth=1
	v_mov_b32_e32 v4, s25
	global_atomic_smin v11, v4, s[20:21]
.LBB16_11:                              ;   in Loop: Header=BB16_8 Depth=1
	s_or_b32 exec_lo, exec_lo, s28
	v_mov_b32_e32 v4, 0
	v_mov_b32_e32 v5, 0x3ff00000
.LBB16_12:                              ;   in Loop: Header=BB16_8 Depth=1
	s_or_b32 exec_lo, exec_lo, s27
	s_mov_b32 s1, -1
	s_mov_b32 s27, 0
	s_cmp_lt_i32 s9, 1
	s_mov_b32 s28, 0
	s_cbranch_scc1 .LBB16_22
; %bb.13:                               ;   in Loop: Header=BB16_8 Depth=1
	s_cmp_eq_u32 s9, 1
	s_mov_b32 s28, -1
	s_cbranch_scc0 .LBB16_21
; %bb.14:                               ;   in Loop: Header=BB16_8 Depth=1
	s_mov_b32 s28, 0
	s_mov_b32 s29, exec_lo
	v_cmpx_le_i32_e64 s16, v6
	s_cbranch_execz .LBB16_20
; %bb.15:                               ;   in Loop: Header=BB16_8 Depth=1
	s_mov_b32 s28, -1
	s_and_saveexec_b32 s1, vcc_lo
	s_xor_b32 s1, exec_lo, s1
	s_cbranch_execz .LBB16_19
; %bb.16:                               ;   in Loop: Header=BB16_8 Depth=1
	s_andn2_b32 vcc_lo, exec_lo, s23
	s_cbranch_vccnz .LBB16_18
; %bb.17:                               ;   in Loop: Header=BB16_8 Depth=1
	v_div_scale_f64 v[7:8], null, v[4:5], v[4:5], 1.0
	v_mov_b32_e32 v9, s26
	v_rcp_f64_e32 v[12:13], v[7:8]
	v_fma_f64 v[14:15], -v[7:8], v[12:13], 1.0
	v_fma_f64 v[12:13], v[12:13], v[14:15], v[12:13]
	v_fma_f64 v[14:15], -v[7:8], v[12:13], 1.0
	v_fma_f64 v[12:13], v[12:13], v[14:15], v[12:13]
	v_div_scale_f64 v[14:15], vcc_lo, 1.0, v[4:5], 1.0
	v_mul_f64 v[16:17], v[14:15], v[12:13]
	v_fma_f64 v[7:8], -v[7:8], v[16:17], v[14:15]
	v_div_fmas_f64 v[7:8], v[7:8], v[12:13], v[16:17]
	v_div_fixup_f64 v[7:8], v[7:8], v[4:5], 1.0
	ds_write_b64 v9, v[7:8]
.LBB16_18:                              ;   in Loop: Header=BB16_8 Depth=1
	s_xor_b32 s28, exec_lo, -1
.LBB16_19:                              ;   in Loop: Header=BB16_8 Depth=1
	s_or_b32 exec_lo, exec_lo, s1
	s_and_b32 s28, s28, exec_lo
.LBB16_20:                              ;   in Loop: Header=BB16_8 Depth=1
	s_or_b32 exec_lo, exec_lo, s29
.LBB16_21:                              ;   in Loop: Header=BB16_8 Depth=1
	s_mov_b32 s1, 0
.LBB16_22:                              ;   in Loop: Header=BB16_8 Depth=1
	s_and_b32 vcc_lo, exec_lo, s1
	s_mov_b32 s1, 4
	s_cbranch_vccz .LBB16_29
; %bb.23:                               ;   in Loop: Header=BB16_8 Depth=1
	s_cmp_eq_u32 s9, 0
	s_cbranch_scc1 .LBB16_25
; %bb.24:                               ;   in Loop: Header=BB16_8 Depth=1
	s_mov_b32 s28, -1
	s_branch .LBB16_28
.LBB16_25:                              ;   in Loop: Header=BB16_8 Depth=1
	s_mov_b32 s28, 0
	s_mov_b32 s1, exec_lo
	v_cmpx_ge_i32_e64 s16, v6
; %bb.26:                               ;   in Loop: Header=BB16_8 Depth=1
	s_mov_b32 s27, exec_lo
	s_and_b32 s28, s0, exec_lo
; %bb.27:                               ;   in Loop: Header=BB16_8 Depth=1
	s_or_b32 exec_lo, exec_lo, s1
.LBB16_28:                              ;   in Loop: Header=BB16_8 Depth=1
	s_mov_b32 s1, 2
.LBB16_29:                              ;   in Loop: Header=BB16_8 Depth=1
	v_mov_b32_e32 v8, v1
	v_mov_b32_e32 v9, s1
	;; [unrolled: 1-line block ×3, first 2 shown]
	s_and_saveexec_b32 s0, s28
	s_cbranch_execz .LBB16_34
; %bb.30:                               ;   in Loop: Header=BB16_8 Depth=1
	v_ashrrev_i32_e32 v7, 31, v6
	s_mov_b32 s1, exec_lo
	v_lshlrev_b64 v[8:9], 2, v[6:7]
	v_add_co_u32 v8, vcc_lo, s14, v8
	v_add_co_ci_u32_e64 v9, null, s15, v9, vcc_lo
	global_load_dword v12, v[8:9], off glc dlc
	s_waitcnt vmcnt(0)
	v_cmpx_eq_u32_e32 0, v12
	s_cbranch_execz .LBB16_33
; %bb.31:                               ;   in Loop: Header=BB16_8 Depth=1
	s_mov_b32 s28, 0
.LBB16_32:                              ;   Parent Loop BB16_8 Depth=1
                                        ; =>  This Inner Loop Header: Depth=2
	global_load_dword v12, v[8:9], off glc dlc
	s_waitcnt vmcnt(0)
	v_cmp_ne_u32_e32 vcc_lo, 0, v12
	s_or_b32 s28, vcc_lo, s28
	s_andn2_b32 exec_lo, exec_lo, s28
	s_cbranch_execnz .LBB16_32
.LBB16_33:                              ;   in Loop: Header=BB16_8 Depth=1
	s_or_b32 exec_lo, exec_lo, s1
	v_lshlrev_b64 v[6:7], 3, v[6:7]
	s_waitcnt lgkmcnt(0)
	s_waitcnt_vscnt null, 0x0
	buffer_gl1_inv
	buffer_gl0_inv
	v_mov_b32_e32 v9, 0
	s_andn2_b32 s27, s27, exec_lo
	v_add_co_u32 v6, vcc_lo, s12, v6
	v_add_co_ci_u32_e64 v7, null, s13, v7, vcc_lo
	global_load_dwordx2 v[6:7], v[6:7], off
	s_waitcnt vmcnt(0)
	v_fma_f64 v[7:8], -v[4:5], v[6:7], v[0:1]
.LBB16_34:                              ;   in Loop: Header=BB16_8 Depth=1
	s_or_b32 exec_lo, exec_lo, s0
	s_and_saveexec_b32 s0, s27
	s_cbranch_execz .LBB16_38
; %bb.35:                               ;   in Loop: Header=BB16_8 Depth=1
	s_andn2_b32 vcc_lo, exec_lo, s23
	s_cbranch_vccnz .LBB16_37
; %bb.36:                               ;   in Loop: Header=BB16_8 Depth=1
	v_div_scale_f64 v[6:7], null, v[4:5], v[4:5], 1.0
	v_rcp_f64_e32 v[8:9], v[6:7]
	v_fma_f64 v[12:13], -v[6:7], v[8:9], 1.0
	v_fma_f64 v[8:9], v[8:9], v[12:13], v[8:9]
	v_fma_f64 v[12:13], -v[6:7], v[8:9], 1.0
	v_fma_f64 v[8:9], v[8:9], v[12:13], v[8:9]
	v_div_scale_f64 v[12:13], vcc_lo, 1.0, v[4:5], 1.0
	v_mul_f64 v[14:15], v[12:13], v[8:9]
	v_fma_f64 v[6:7], -v[6:7], v[14:15], v[12:13]
	v_div_fmas_f64 v[6:7], v[6:7], v[8:9], v[14:15]
	v_div_fixup_f64 v[4:5], v[6:7], v[4:5], 1.0
	v_mov_b32_e32 v6, s26
	ds_write_b64 v6, v[4:5]
.LBB16_37:                              ;   in Loop: Header=BB16_8 Depth=1
	v_mov_b32_e32 v8, v1
	v_mov_b32_e32 v9, 2
	;; [unrolled: 1-line block ×3, first 2 shown]
.LBB16_38:                              ;   in Loop: Header=BB16_8 Depth=1
	s_or_b32 exec_lo, exec_lo, s0
	v_mov_b32_e32 v0, v7
	v_mov_b32_e32 v1, v8
	s_mov_b32 s0, -1
	s_mov_b32 s27, -1
	s_mov_b32 s1, exec_lo
	v_cmpx_gt_i32_e32 4, v9
; %bb.39:                               ;   in Loop: Header=BB16_8 Depth=1
	v_cmp_eq_u32_e32 vcc_lo, 0, v9
	s_orn2_b32 s27, vcc_lo, exec_lo
; %bb.40:                               ;   in Loop: Header=BB16_8 Depth=1
	s_or_b32 exec_lo, exec_lo, s1
	s_and_saveexec_b32 s1, s27
	s_cbranch_execz .LBB16_7
; %bb.41:                               ;   in Loop: Header=BB16_8 Depth=1
	v_add_co_u32 v2, vcc_lo, v2, 32
	v_add_co_ci_u32_e64 v3, null, 0, v3, vcc_lo
	v_cmp_le_i64_e32 vcc_lo, s[2:3], v[2:3]
	s_orn2_b32 s0, vcc_lo, exec_lo
	s_branch .LBB16_7
.LBB16_42:
	s_or_b32 exec_lo, exec_lo, s24
.LBB16_43:
	s_or_b32 exec_lo, exec_lo, s22
	v_mbcnt_lo_u32_b32 v4, -1, 0
	s_cmp_lg_u32 s10, 0
	v_xor_b32_e32 v2, 16, v4
	v_cmp_gt_i32_e32 vcc_lo, 32, v2
	v_cndmask_b32_e32 v2, v4, v2, vcc_lo
	v_lshlrev_b32_e32 v3, 2, v2
	ds_bpermute_b32 v2, v3, v0
	ds_bpermute_b32 v3, v3, v1
	s_waitcnt lgkmcnt(0)
	v_add_f64 v[0:1], v[0:1], v[2:3]
	v_xor_b32_e32 v2, 8, v4
	v_cmp_gt_i32_e32 vcc_lo, 32, v2
	v_cndmask_b32_e32 v2, v4, v2, vcc_lo
	v_lshlrev_b32_e32 v3, 2, v2
	ds_bpermute_b32 v2, v3, v0
	ds_bpermute_b32 v3, v3, v1
	s_waitcnt lgkmcnt(0)
	v_add_f64 v[0:1], v[0:1], v[2:3]
	;; [unrolled: 8-line block ×5, first 2 shown]
	s_cbranch_scc1 .LBB16_45
; %bb.44:
	s_lshl_b32 s0, s11, 3
	s_waitcnt_vscnt null, 0x0
	buffer_gl0_inv
	v_mov_b32_e32 v2, s0
	ds_read_b64 v[2:3], v2
	s_waitcnt lgkmcnt(0)
	v_mul_f64 v[0:1], v[0:1], v[2:3]
.LBB16_45:
	s_mov_b32 s0, exec_lo
	v_cmpx_eq_u32_e32 31, v10
	s_cbranch_execz .LBB16_47
; %bb.46:
	s_add_u32 s0, s12, s18
	v_mov_b32_e32 v2, 0
	s_addc_u32 s1, s13, s19
	s_lshl_b64 s[2:3], s[16:17], 2
	v_mov_b32_e32 v3, 1
	s_add_u32 s2, s14, s2
	s_addc_u32 s3, s15, s3
	global_store_dwordx2 v2, v[0:1], s[0:1] glc slc
	s_waitcnt_vscnt null, 0x0
	global_store_dword v2, v3, s[2:3]
.LBB16_47:
	s_endpgm
	.section	.rodata,"a",@progbits
	.p2align	6, 0x0
	.amdhsa_kernel _ZN9rocsparseL12csrsv_kernelILj1024ELj32ELb0ElidEEvT3_NS_24const_host_device_scalarIT4_EEPKT2_PKS1_PKS3_SB_lPS3_PiS9_iPS1_21rocsparse_index_base_20rocsparse_fill_mode_20rocsparse_diag_type_b
		.amdhsa_group_segment_fixed_size 256
		.amdhsa_private_segment_fixed_size 0
		.amdhsa_kernarg_size 112
		.amdhsa_user_sgpr_count 6
		.amdhsa_user_sgpr_private_segment_buffer 1
		.amdhsa_user_sgpr_dispatch_ptr 0
		.amdhsa_user_sgpr_queue_ptr 0
		.amdhsa_user_sgpr_kernarg_segment_ptr 1
		.amdhsa_user_sgpr_dispatch_id 0
		.amdhsa_user_sgpr_flat_scratch_init 0
		.amdhsa_user_sgpr_private_segment_size 0
		.amdhsa_wavefront_size32 1
		.amdhsa_uses_dynamic_stack 0
		.amdhsa_system_sgpr_private_segment_wavefront_offset 0
		.amdhsa_system_sgpr_workgroup_id_x 1
		.amdhsa_system_sgpr_workgroup_id_y 0
		.amdhsa_system_sgpr_workgroup_id_z 0
		.amdhsa_system_sgpr_workgroup_info 0
		.amdhsa_system_vgpr_workitem_id 0
		.amdhsa_next_free_vgpr 18
		.amdhsa_next_free_sgpr 30
		.amdhsa_reserve_vcc 1
		.amdhsa_reserve_flat_scratch 0
		.amdhsa_float_round_mode_32 0
		.amdhsa_float_round_mode_16_64 0
		.amdhsa_float_denorm_mode_32 3
		.amdhsa_float_denorm_mode_16_64 3
		.amdhsa_dx10_clamp 1
		.amdhsa_ieee_mode 1
		.amdhsa_fp16_overflow 0
		.amdhsa_workgroup_processor_mode 1
		.amdhsa_memory_ordered 1
		.amdhsa_forward_progress 1
		.amdhsa_shared_vgpr_count 0
		.amdhsa_exception_fp_ieee_invalid_op 0
		.amdhsa_exception_fp_denorm_src 0
		.amdhsa_exception_fp_ieee_div_zero 0
		.amdhsa_exception_fp_ieee_overflow 0
		.amdhsa_exception_fp_ieee_underflow 0
		.amdhsa_exception_fp_ieee_inexact 0
		.amdhsa_exception_int_div_zero 0
	.end_amdhsa_kernel
	.section	.text._ZN9rocsparseL12csrsv_kernelILj1024ELj32ELb0ElidEEvT3_NS_24const_host_device_scalarIT4_EEPKT2_PKS1_PKS3_SB_lPS3_PiS9_iPS1_21rocsparse_index_base_20rocsparse_fill_mode_20rocsparse_diag_type_b,"axG",@progbits,_ZN9rocsparseL12csrsv_kernelILj1024ELj32ELb0ElidEEvT3_NS_24const_host_device_scalarIT4_EEPKT2_PKS1_PKS3_SB_lPS3_PiS9_iPS1_21rocsparse_index_base_20rocsparse_fill_mode_20rocsparse_diag_type_b,comdat
.Lfunc_end16:
	.size	_ZN9rocsparseL12csrsv_kernelILj1024ELj32ELb0ElidEEvT3_NS_24const_host_device_scalarIT4_EEPKT2_PKS1_PKS3_SB_lPS3_PiS9_iPS1_21rocsparse_index_base_20rocsparse_fill_mode_20rocsparse_diag_type_b, .Lfunc_end16-_ZN9rocsparseL12csrsv_kernelILj1024ELj32ELb0ElidEEvT3_NS_24const_host_device_scalarIT4_EEPKT2_PKS1_PKS3_SB_lPS3_PiS9_iPS1_21rocsparse_index_base_20rocsparse_fill_mode_20rocsparse_diag_type_b
                                        ; -- End function
	.set _ZN9rocsparseL12csrsv_kernelILj1024ELj32ELb0ElidEEvT3_NS_24const_host_device_scalarIT4_EEPKT2_PKS1_PKS3_SB_lPS3_PiS9_iPS1_21rocsparse_index_base_20rocsparse_fill_mode_20rocsparse_diag_type_b.num_vgpr, 18
	.set _ZN9rocsparseL12csrsv_kernelILj1024ELj32ELb0ElidEEvT3_NS_24const_host_device_scalarIT4_EEPKT2_PKS1_PKS3_SB_lPS3_PiS9_iPS1_21rocsparse_index_base_20rocsparse_fill_mode_20rocsparse_diag_type_b.num_agpr, 0
	.set _ZN9rocsparseL12csrsv_kernelILj1024ELj32ELb0ElidEEvT3_NS_24const_host_device_scalarIT4_EEPKT2_PKS1_PKS3_SB_lPS3_PiS9_iPS1_21rocsparse_index_base_20rocsparse_fill_mode_20rocsparse_diag_type_b.numbered_sgpr, 30
	.set _ZN9rocsparseL12csrsv_kernelILj1024ELj32ELb0ElidEEvT3_NS_24const_host_device_scalarIT4_EEPKT2_PKS1_PKS3_SB_lPS3_PiS9_iPS1_21rocsparse_index_base_20rocsparse_fill_mode_20rocsparse_diag_type_b.num_named_barrier, 0
	.set _ZN9rocsparseL12csrsv_kernelILj1024ELj32ELb0ElidEEvT3_NS_24const_host_device_scalarIT4_EEPKT2_PKS1_PKS3_SB_lPS3_PiS9_iPS1_21rocsparse_index_base_20rocsparse_fill_mode_20rocsparse_diag_type_b.private_seg_size, 0
	.set _ZN9rocsparseL12csrsv_kernelILj1024ELj32ELb0ElidEEvT3_NS_24const_host_device_scalarIT4_EEPKT2_PKS1_PKS3_SB_lPS3_PiS9_iPS1_21rocsparse_index_base_20rocsparse_fill_mode_20rocsparse_diag_type_b.uses_vcc, 1
	.set _ZN9rocsparseL12csrsv_kernelILj1024ELj32ELb0ElidEEvT3_NS_24const_host_device_scalarIT4_EEPKT2_PKS1_PKS3_SB_lPS3_PiS9_iPS1_21rocsparse_index_base_20rocsparse_fill_mode_20rocsparse_diag_type_b.uses_flat_scratch, 0
	.set _ZN9rocsparseL12csrsv_kernelILj1024ELj32ELb0ElidEEvT3_NS_24const_host_device_scalarIT4_EEPKT2_PKS1_PKS3_SB_lPS3_PiS9_iPS1_21rocsparse_index_base_20rocsparse_fill_mode_20rocsparse_diag_type_b.has_dyn_sized_stack, 0
	.set _ZN9rocsparseL12csrsv_kernelILj1024ELj32ELb0ElidEEvT3_NS_24const_host_device_scalarIT4_EEPKT2_PKS1_PKS3_SB_lPS3_PiS9_iPS1_21rocsparse_index_base_20rocsparse_fill_mode_20rocsparse_diag_type_b.has_recursion, 0
	.set _ZN9rocsparseL12csrsv_kernelILj1024ELj32ELb0ElidEEvT3_NS_24const_host_device_scalarIT4_EEPKT2_PKS1_PKS3_SB_lPS3_PiS9_iPS1_21rocsparse_index_base_20rocsparse_fill_mode_20rocsparse_diag_type_b.has_indirect_call, 0
	.section	.AMDGPU.csdata,"",@progbits
; Kernel info:
; codeLenInByte = 1580
; TotalNumSgprs: 32
; NumVgprs: 18
; ScratchSize: 0
; MemoryBound: 0
; FloatMode: 240
; IeeeMode: 1
; LDSByteSize: 256 bytes/workgroup (compile time only)
; SGPRBlocks: 0
; VGPRBlocks: 2
; NumSGPRsForWavesPerEU: 32
; NumVGPRsForWavesPerEU: 18
; Occupancy: 16
; WaveLimiterHint : 1
; COMPUTE_PGM_RSRC2:SCRATCH_EN: 0
; COMPUTE_PGM_RSRC2:USER_SGPR: 6
; COMPUTE_PGM_RSRC2:TRAP_HANDLER: 0
; COMPUTE_PGM_RSRC2:TGID_X_EN: 1
; COMPUTE_PGM_RSRC2:TGID_Y_EN: 0
; COMPUTE_PGM_RSRC2:TGID_Z_EN: 0
; COMPUTE_PGM_RSRC2:TIDIG_COMP_CNT: 0
	.section	.text._ZN9rocsparseL12csrsv_kernelILj1024ELj64ELb0ElidEEvT3_NS_24const_host_device_scalarIT4_EEPKT2_PKS1_PKS3_SB_lPS3_PiS9_iPS1_21rocsparse_index_base_20rocsparse_fill_mode_20rocsparse_diag_type_b,"axG",@progbits,_ZN9rocsparseL12csrsv_kernelILj1024ELj64ELb0ElidEEvT3_NS_24const_host_device_scalarIT4_EEPKT2_PKS1_PKS3_SB_lPS3_PiS9_iPS1_21rocsparse_index_base_20rocsparse_fill_mode_20rocsparse_diag_type_b,comdat
	.globl	_ZN9rocsparseL12csrsv_kernelILj1024ELj64ELb0ElidEEvT3_NS_24const_host_device_scalarIT4_EEPKT2_PKS1_PKS3_SB_lPS3_PiS9_iPS1_21rocsparse_index_base_20rocsparse_fill_mode_20rocsparse_diag_type_b ; -- Begin function _ZN9rocsparseL12csrsv_kernelILj1024ELj64ELb0ElidEEvT3_NS_24const_host_device_scalarIT4_EEPKT2_PKS1_PKS3_SB_lPS3_PiS9_iPS1_21rocsparse_index_base_20rocsparse_fill_mode_20rocsparse_diag_type_b
	.p2align	8
	.type	_ZN9rocsparseL12csrsv_kernelILj1024ELj64ELb0ElidEEvT3_NS_24const_host_device_scalarIT4_EEPKT2_PKS1_PKS3_SB_lPS3_PiS9_iPS1_21rocsparse_index_base_20rocsparse_fill_mode_20rocsparse_diag_type_b,@function
_ZN9rocsparseL12csrsv_kernelILj1024ELj64ELb0ElidEEvT3_NS_24const_host_device_scalarIT4_EEPKT2_PKS1_PKS3_SB_lPS3_PiS9_iPS1_21rocsparse_index_base_20rocsparse_fill_mode_20rocsparse_diag_type_b: ; @_ZN9rocsparseL12csrsv_kernelILj1024ELj64ELb0ElidEEvT3_NS_24const_host_device_scalarIT4_EEPKT2_PKS1_PKS3_SB_lPS3_PiS9_iPS1_21rocsparse_index_base_20rocsparse_fill_mode_20rocsparse_diag_type_b
; %bb.0:
	s_clause 0x1
	s_load_dwordx4 s[8:11], s[4:5], 0x60
	s_load_dwordx2 s[0:1], s[4:5], 0x8
	s_waitcnt lgkmcnt(0)
	s_bitcmp1_b32 s11, 0
	v_mov_b32_e32 v3, s1
	v_mov_b32_e32 v2, s0
	s_cselect_b32 s2, -1, 0
	s_and_b32 vcc_lo, exec_lo, s2
	s_cbranch_vccnz .LBB17_2
; %bb.1:
	v_mov_b32_e32 v2, s1
	v_mov_b32_e32 v1, s0
	flat_load_dwordx2 v[2:3], v[1:2]
.LBB17_2:
	s_load_dword s1, s[4:5], 0x0
	v_readfirstlane_b32 s0, v0
	s_lshr_b32 s11, s0, 6
	s_lshl_b32 s0, s6, 4
	s_add_i32 s0, s11, s0
	s_waitcnt lgkmcnt(0)
	s_cmp_ge_i32 s0, s1
	s_cbranch_scc1 .LBB17_47
; %bb.3:
	s_clause 0x2
	s_load_dword s1, s[4:5], 0x50
	s_load_dwordx2 s[2:3], s[4:5], 0x48
	s_load_dwordx4 s[12:15], s[4:5], 0x38
	v_and_b32_e32 v10, 63, v0
	v_mov_b32_e32 v0, 0
	v_mov_b32_e32 v1, 0
	s_mov_b32 s6, exec_lo
	s_waitcnt lgkmcnt(0)
	s_add_i32 s0, s0, s1
	s_ashr_i32 s1, s0, 31
	s_lshl_b64 s[0:1], s[0:1], 2
	s_add_u32 s0, s2, s0
	s_addc_u32 s1, s3, s1
	s_load_dword s16, s[0:1], 0x0
	s_load_dwordx2 s[0:1], s[4:5], 0x10
	s_waitcnt lgkmcnt(0)
	s_ashr_i32 s17, s16, 31
	s_lshl_b64 s[18:19], s[16:17], 3
	s_add_u32 s0, s0, s18
	s_addc_u32 s1, s1, s19
	s_load_dwordx4 s[0:3], s[0:1], 0x0
	v_cmpx_eq_u32_e32 0, v10
	s_cbranch_execz .LBB17_5
; %bb.4:
	s_load_dwordx4 s[20:23], s[4:5], 0x28
	s_waitcnt lgkmcnt(0)
	s_mul_i32 s7, s22, s17
	s_mul_hi_u32 s24, s22, s16
	s_mul_i32 s23, s23, s16
	s_add_i32 s7, s24, s7
	s_mul_i32 s22, s22, s16
	s_add_i32 s23, s7, s23
	s_lshl_b64 s[22:23], s[22:23], 3
	s_add_u32 s20, s20, s22
	s_addc_u32 s21, s21, s23
	s_load_dwordx2 s[20:21], s[20:21], 0x0
	s_waitcnt vmcnt(0) lgkmcnt(0)
	v_mul_f64 v[0:1], v[2:3], s[20:21]
.LBB17_5:
	s_or_b32 exec_lo, exec_lo, s6
	s_waitcnt vmcnt(0)
	v_sub_co_u32 v2, s6, v10, s8
	v_sub_co_ci_u32_e64 v3, null, 0, 0, s6
	v_mov_b32_e32 v11, 0
	s_waitcnt lgkmcnt(0)
	v_add_co_u32 v2, vcc_lo, s0, v2
	v_add_co_ci_u32_e64 v3, null, s1, v3, vcc_lo
	s_sub_u32 s2, s2, s8
	s_subb_u32 s3, s3, 0
	s_mov_b32 s22, exec_lo
	v_cmpx_gt_i64_e64 s[2:3], v[2:3]
	s_cbranch_execz .LBB17_43
; %bb.6:
	s_clause 0x1
	s_load_dwordx2 s[20:21], s[4:5], 0x58
	s_load_dwordx4 s[4:7], s[4:5], 0x18
	s_cmp_eq_u32 s10, 0
	s_mov_b32 s24, 0
	s_cselect_b32 s23, -1, 0
	s_add_i32 s25, s16, s8
	s_lshl_b32 s26, s11, 3
	s_branch .LBB17_8
.LBB17_7:                               ;   in Loop: Header=BB17_8 Depth=1
	s_or_b32 exec_lo, exec_lo, s1
	s_and_b32 s0, exec_lo, s0
	s_or_b32 s24, s0, s24
	s_andn2_b32 exec_lo, exec_lo, s24
	s_cbranch_execz .LBB17_42
.LBB17_8:                               ; =>This Loop Header: Depth=1
                                        ;     Child Loop BB17_32 Depth 2
	v_lshlrev_b64 v[4:5], 3, v[2:3]
	v_lshlrev_b64 v[6:7], 2, v[2:3]
	s_waitcnt lgkmcnt(0)
	v_add_co_u32 v4, vcc_lo, s6, v4
	v_add_co_ci_u32_e64 v5, null, s7, v5, vcc_lo
	v_add_co_u32 v6, vcc_lo, s4, v6
	v_add_co_ci_u32_e64 v7, null, s5, v7, vcc_lo
	global_load_dwordx2 v[4:5], v[4:5], off slc
	global_load_dword v6, v[6:7], off slc
	s_waitcnt vmcnt(1)
	v_cmp_eq_f64_e64 s1, 0, v[4:5]
	s_waitcnt vmcnt(0)
	v_subrev_nc_u32_e32 v6, s8, v6
	v_cmp_eq_u32_e32 vcc_lo, s16, v6
	v_cmp_ne_u32_e64 s0, s16, v6
	s_and_b32 s27, s23, vcc_lo
	s_and_b32 s1, s1, s27
	s_and_saveexec_b32 s27, s1
	s_cbranch_execz .LBB17_12
; %bb.9:                                ;   in Loop: Header=BB17_8 Depth=1
	v_mbcnt_lo_u32_b32 v4, exec_lo, 0
	s_mov_b32 s28, exec_lo
	v_cmpx_eq_u32_e32 0, v4
	s_cbranch_execz .LBB17_11
; %bb.10:                               ;   in Loop: Header=BB17_8 Depth=1
	v_mov_b32_e32 v4, s25
	global_atomic_smin v11, v4, s[20:21]
.LBB17_11:                              ;   in Loop: Header=BB17_8 Depth=1
	s_or_b32 exec_lo, exec_lo, s28
	v_mov_b32_e32 v4, 0
	v_mov_b32_e32 v5, 0x3ff00000
.LBB17_12:                              ;   in Loop: Header=BB17_8 Depth=1
	s_or_b32 exec_lo, exec_lo, s27
	s_mov_b32 s1, -1
	s_mov_b32 s27, 0
	s_cmp_lt_i32 s9, 1
	s_mov_b32 s28, 0
	s_cbranch_scc1 .LBB17_22
; %bb.13:                               ;   in Loop: Header=BB17_8 Depth=1
	s_cmp_eq_u32 s9, 1
	s_mov_b32 s28, -1
	s_cbranch_scc0 .LBB17_21
; %bb.14:                               ;   in Loop: Header=BB17_8 Depth=1
	s_mov_b32 s28, 0
	s_mov_b32 s29, exec_lo
	v_cmpx_le_i32_e64 s16, v6
	s_cbranch_execz .LBB17_20
; %bb.15:                               ;   in Loop: Header=BB17_8 Depth=1
	s_mov_b32 s28, -1
	s_and_saveexec_b32 s1, vcc_lo
	s_xor_b32 s1, exec_lo, s1
	s_cbranch_execz .LBB17_19
; %bb.16:                               ;   in Loop: Header=BB17_8 Depth=1
	s_andn2_b32 vcc_lo, exec_lo, s23
	s_cbranch_vccnz .LBB17_18
; %bb.17:                               ;   in Loop: Header=BB17_8 Depth=1
	v_div_scale_f64 v[7:8], null, v[4:5], v[4:5], 1.0
	v_mov_b32_e32 v9, s26
	v_rcp_f64_e32 v[12:13], v[7:8]
	v_fma_f64 v[14:15], -v[7:8], v[12:13], 1.0
	v_fma_f64 v[12:13], v[12:13], v[14:15], v[12:13]
	v_fma_f64 v[14:15], -v[7:8], v[12:13], 1.0
	v_fma_f64 v[12:13], v[12:13], v[14:15], v[12:13]
	v_div_scale_f64 v[14:15], vcc_lo, 1.0, v[4:5], 1.0
	v_mul_f64 v[16:17], v[14:15], v[12:13]
	v_fma_f64 v[7:8], -v[7:8], v[16:17], v[14:15]
	v_div_fmas_f64 v[7:8], v[7:8], v[12:13], v[16:17]
	v_div_fixup_f64 v[7:8], v[7:8], v[4:5], 1.0
	ds_write_b64 v9, v[7:8]
.LBB17_18:                              ;   in Loop: Header=BB17_8 Depth=1
	s_xor_b32 s28, exec_lo, -1
.LBB17_19:                              ;   in Loop: Header=BB17_8 Depth=1
	s_or_b32 exec_lo, exec_lo, s1
	s_and_b32 s28, s28, exec_lo
.LBB17_20:                              ;   in Loop: Header=BB17_8 Depth=1
	s_or_b32 exec_lo, exec_lo, s29
.LBB17_21:                              ;   in Loop: Header=BB17_8 Depth=1
	s_mov_b32 s1, 0
.LBB17_22:                              ;   in Loop: Header=BB17_8 Depth=1
	s_and_b32 vcc_lo, exec_lo, s1
	s_mov_b32 s1, 4
	s_cbranch_vccz .LBB17_29
; %bb.23:                               ;   in Loop: Header=BB17_8 Depth=1
	s_cmp_eq_u32 s9, 0
	s_cbranch_scc1 .LBB17_25
; %bb.24:                               ;   in Loop: Header=BB17_8 Depth=1
	s_mov_b32 s28, -1
	s_branch .LBB17_28
.LBB17_25:                              ;   in Loop: Header=BB17_8 Depth=1
	s_mov_b32 s28, 0
	s_mov_b32 s1, exec_lo
	v_cmpx_ge_i32_e64 s16, v6
; %bb.26:                               ;   in Loop: Header=BB17_8 Depth=1
	s_mov_b32 s27, exec_lo
	s_and_b32 s28, s0, exec_lo
; %bb.27:                               ;   in Loop: Header=BB17_8 Depth=1
	s_or_b32 exec_lo, exec_lo, s1
.LBB17_28:                              ;   in Loop: Header=BB17_8 Depth=1
	s_mov_b32 s1, 2
.LBB17_29:                              ;   in Loop: Header=BB17_8 Depth=1
	v_mov_b32_e32 v8, v1
	v_mov_b32_e32 v9, s1
	;; [unrolled: 1-line block ×3, first 2 shown]
	s_and_saveexec_b32 s0, s28
	s_cbranch_execz .LBB17_34
; %bb.30:                               ;   in Loop: Header=BB17_8 Depth=1
	v_ashrrev_i32_e32 v7, 31, v6
	s_mov_b32 s1, exec_lo
	v_lshlrev_b64 v[8:9], 2, v[6:7]
	v_add_co_u32 v8, vcc_lo, s14, v8
	v_add_co_ci_u32_e64 v9, null, s15, v9, vcc_lo
	global_load_dword v12, v[8:9], off glc dlc
	s_waitcnt vmcnt(0)
	v_cmpx_eq_u32_e32 0, v12
	s_cbranch_execz .LBB17_33
; %bb.31:                               ;   in Loop: Header=BB17_8 Depth=1
	s_mov_b32 s28, 0
.LBB17_32:                              ;   Parent Loop BB17_8 Depth=1
                                        ; =>  This Inner Loop Header: Depth=2
	global_load_dword v12, v[8:9], off glc dlc
	s_waitcnt vmcnt(0)
	v_cmp_ne_u32_e32 vcc_lo, 0, v12
	s_or_b32 s28, vcc_lo, s28
	s_andn2_b32 exec_lo, exec_lo, s28
	s_cbranch_execnz .LBB17_32
.LBB17_33:                              ;   in Loop: Header=BB17_8 Depth=1
	s_or_b32 exec_lo, exec_lo, s1
	v_lshlrev_b64 v[6:7], 3, v[6:7]
	s_waitcnt lgkmcnt(0)
	s_waitcnt_vscnt null, 0x0
	buffer_gl1_inv
	buffer_gl0_inv
	v_mov_b32_e32 v9, 0
	s_andn2_b32 s27, s27, exec_lo
	v_add_co_u32 v6, vcc_lo, s12, v6
	v_add_co_ci_u32_e64 v7, null, s13, v7, vcc_lo
	global_load_dwordx2 v[6:7], v[6:7], off
	s_waitcnt vmcnt(0)
	v_fma_f64 v[7:8], -v[4:5], v[6:7], v[0:1]
.LBB17_34:                              ;   in Loop: Header=BB17_8 Depth=1
	s_or_b32 exec_lo, exec_lo, s0
	s_and_saveexec_b32 s0, s27
	s_cbranch_execz .LBB17_38
; %bb.35:                               ;   in Loop: Header=BB17_8 Depth=1
	s_andn2_b32 vcc_lo, exec_lo, s23
	s_cbranch_vccnz .LBB17_37
; %bb.36:                               ;   in Loop: Header=BB17_8 Depth=1
	v_div_scale_f64 v[6:7], null, v[4:5], v[4:5], 1.0
	v_rcp_f64_e32 v[8:9], v[6:7]
	v_fma_f64 v[12:13], -v[6:7], v[8:9], 1.0
	v_fma_f64 v[8:9], v[8:9], v[12:13], v[8:9]
	v_fma_f64 v[12:13], -v[6:7], v[8:9], 1.0
	v_fma_f64 v[8:9], v[8:9], v[12:13], v[8:9]
	v_div_scale_f64 v[12:13], vcc_lo, 1.0, v[4:5], 1.0
	v_mul_f64 v[14:15], v[12:13], v[8:9]
	v_fma_f64 v[6:7], -v[6:7], v[14:15], v[12:13]
	v_div_fmas_f64 v[6:7], v[6:7], v[8:9], v[14:15]
	v_div_fixup_f64 v[4:5], v[6:7], v[4:5], 1.0
	v_mov_b32_e32 v6, s26
	ds_write_b64 v6, v[4:5]
.LBB17_37:                              ;   in Loop: Header=BB17_8 Depth=1
	v_mov_b32_e32 v8, v1
	v_mov_b32_e32 v9, 2
	;; [unrolled: 1-line block ×3, first 2 shown]
.LBB17_38:                              ;   in Loop: Header=BB17_8 Depth=1
	s_or_b32 exec_lo, exec_lo, s0
	v_mov_b32_e32 v0, v7
	v_mov_b32_e32 v1, v8
	s_mov_b32 s0, -1
	s_mov_b32 s27, -1
	s_mov_b32 s1, exec_lo
	v_cmpx_gt_i32_e32 4, v9
; %bb.39:                               ;   in Loop: Header=BB17_8 Depth=1
	v_cmp_eq_u32_e32 vcc_lo, 0, v9
	s_orn2_b32 s27, vcc_lo, exec_lo
; %bb.40:                               ;   in Loop: Header=BB17_8 Depth=1
	s_or_b32 exec_lo, exec_lo, s1
	s_and_saveexec_b32 s1, s27
	s_cbranch_execz .LBB17_7
; %bb.41:                               ;   in Loop: Header=BB17_8 Depth=1
	v_add_co_u32 v2, vcc_lo, v2, 64
	v_add_co_ci_u32_e64 v3, null, 0, v3, vcc_lo
	v_cmp_le_i64_e32 vcc_lo, s[2:3], v[2:3]
	s_orn2_b32 s0, vcc_lo, exec_lo
	s_branch .LBB17_7
.LBB17_42:
	s_or_b32 exec_lo, exec_lo, s24
.LBB17_43:
	s_or_b32 exec_lo, exec_lo, s22
	v_mbcnt_lo_u32_b32 v4, -1, 0
	s_cmp_lg_u32 s10, 0
	v_or_b32_e32 v2, 32, v4
	v_cmp_gt_i32_e32 vcc_lo, 32, v2
	v_cndmask_b32_e32 v2, v4, v2, vcc_lo
	v_lshlrev_b32_e32 v3, 2, v2
	ds_bpermute_b32 v2, v3, v0
	ds_bpermute_b32 v3, v3, v1
	s_waitcnt lgkmcnt(0)
	v_add_f64 v[0:1], v[0:1], v[2:3]
	v_xor_b32_e32 v2, 16, v4
	v_cmp_gt_i32_e32 vcc_lo, 32, v2
	v_cndmask_b32_e32 v2, v4, v2, vcc_lo
	v_lshlrev_b32_e32 v3, 2, v2
	ds_bpermute_b32 v2, v3, v0
	ds_bpermute_b32 v3, v3, v1
	s_waitcnt lgkmcnt(0)
	v_add_f64 v[0:1], v[0:1], v[2:3]
	v_xor_b32_e32 v2, 8, v4
	;; [unrolled: 8-line block ×5, first 2 shown]
	v_cmp_gt_i32_e32 vcc_lo, 32, v2
	v_cndmask_b32_e32 v2, v4, v2, vcc_lo
	v_lshlrev_b32_e32 v3, 2, v2
	ds_bpermute_b32 v2, v3, v0
	ds_bpermute_b32 v3, v3, v1
	s_waitcnt lgkmcnt(0)
	v_add_f64 v[0:1], v[0:1], v[2:3]
	s_cbranch_scc1 .LBB17_45
; %bb.44:
	s_lshl_b32 s0, s11, 3
	s_waitcnt_vscnt null, 0x0
	buffer_gl0_inv
	v_mov_b32_e32 v2, s0
	ds_read_b64 v[2:3], v2
	s_waitcnt lgkmcnt(0)
	v_mul_f64 v[0:1], v[0:1], v[2:3]
.LBB17_45:
	s_mov_b32 s0, exec_lo
	v_cmpx_eq_u32_e32 63, v10
	s_cbranch_execz .LBB17_47
; %bb.46:
	s_add_u32 s0, s12, s18
	v_mov_b32_e32 v2, 0
	s_addc_u32 s1, s13, s19
	s_lshl_b64 s[2:3], s[16:17], 2
	v_mov_b32_e32 v3, 1
	s_add_u32 s2, s14, s2
	s_addc_u32 s3, s15, s3
	global_store_dwordx2 v2, v[0:1], s[0:1] glc slc
	s_waitcnt_vscnt null, 0x0
	global_store_dword v2, v3, s[2:3]
.LBB17_47:
	s_endpgm
	.section	.rodata,"a",@progbits
	.p2align	6, 0x0
	.amdhsa_kernel _ZN9rocsparseL12csrsv_kernelILj1024ELj64ELb0ElidEEvT3_NS_24const_host_device_scalarIT4_EEPKT2_PKS1_PKS3_SB_lPS3_PiS9_iPS1_21rocsparse_index_base_20rocsparse_fill_mode_20rocsparse_diag_type_b
		.amdhsa_group_segment_fixed_size 128
		.amdhsa_private_segment_fixed_size 0
		.amdhsa_kernarg_size 112
		.amdhsa_user_sgpr_count 6
		.amdhsa_user_sgpr_private_segment_buffer 1
		.amdhsa_user_sgpr_dispatch_ptr 0
		.amdhsa_user_sgpr_queue_ptr 0
		.amdhsa_user_sgpr_kernarg_segment_ptr 1
		.amdhsa_user_sgpr_dispatch_id 0
		.amdhsa_user_sgpr_flat_scratch_init 0
		.amdhsa_user_sgpr_private_segment_size 0
		.amdhsa_wavefront_size32 1
		.amdhsa_uses_dynamic_stack 0
		.amdhsa_system_sgpr_private_segment_wavefront_offset 0
		.amdhsa_system_sgpr_workgroup_id_x 1
		.amdhsa_system_sgpr_workgroup_id_y 0
		.amdhsa_system_sgpr_workgroup_id_z 0
		.amdhsa_system_sgpr_workgroup_info 0
		.amdhsa_system_vgpr_workitem_id 0
		.amdhsa_next_free_vgpr 18
		.amdhsa_next_free_sgpr 30
		.amdhsa_reserve_vcc 1
		.amdhsa_reserve_flat_scratch 0
		.amdhsa_float_round_mode_32 0
		.amdhsa_float_round_mode_16_64 0
		.amdhsa_float_denorm_mode_32 3
		.amdhsa_float_denorm_mode_16_64 3
		.amdhsa_dx10_clamp 1
		.amdhsa_ieee_mode 1
		.amdhsa_fp16_overflow 0
		.amdhsa_workgroup_processor_mode 1
		.amdhsa_memory_ordered 1
		.amdhsa_forward_progress 1
		.amdhsa_shared_vgpr_count 0
		.amdhsa_exception_fp_ieee_invalid_op 0
		.amdhsa_exception_fp_denorm_src 0
		.amdhsa_exception_fp_ieee_div_zero 0
		.amdhsa_exception_fp_ieee_overflow 0
		.amdhsa_exception_fp_ieee_underflow 0
		.amdhsa_exception_fp_ieee_inexact 0
		.amdhsa_exception_int_div_zero 0
	.end_amdhsa_kernel
	.section	.text._ZN9rocsparseL12csrsv_kernelILj1024ELj64ELb0ElidEEvT3_NS_24const_host_device_scalarIT4_EEPKT2_PKS1_PKS3_SB_lPS3_PiS9_iPS1_21rocsparse_index_base_20rocsparse_fill_mode_20rocsparse_diag_type_b,"axG",@progbits,_ZN9rocsparseL12csrsv_kernelILj1024ELj64ELb0ElidEEvT3_NS_24const_host_device_scalarIT4_EEPKT2_PKS1_PKS3_SB_lPS3_PiS9_iPS1_21rocsparse_index_base_20rocsparse_fill_mode_20rocsparse_diag_type_b,comdat
.Lfunc_end17:
	.size	_ZN9rocsparseL12csrsv_kernelILj1024ELj64ELb0ElidEEvT3_NS_24const_host_device_scalarIT4_EEPKT2_PKS1_PKS3_SB_lPS3_PiS9_iPS1_21rocsparse_index_base_20rocsparse_fill_mode_20rocsparse_diag_type_b, .Lfunc_end17-_ZN9rocsparseL12csrsv_kernelILj1024ELj64ELb0ElidEEvT3_NS_24const_host_device_scalarIT4_EEPKT2_PKS1_PKS3_SB_lPS3_PiS9_iPS1_21rocsparse_index_base_20rocsparse_fill_mode_20rocsparse_diag_type_b
                                        ; -- End function
	.set _ZN9rocsparseL12csrsv_kernelILj1024ELj64ELb0ElidEEvT3_NS_24const_host_device_scalarIT4_EEPKT2_PKS1_PKS3_SB_lPS3_PiS9_iPS1_21rocsparse_index_base_20rocsparse_fill_mode_20rocsparse_diag_type_b.num_vgpr, 18
	.set _ZN9rocsparseL12csrsv_kernelILj1024ELj64ELb0ElidEEvT3_NS_24const_host_device_scalarIT4_EEPKT2_PKS1_PKS3_SB_lPS3_PiS9_iPS1_21rocsparse_index_base_20rocsparse_fill_mode_20rocsparse_diag_type_b.num_agpr, 0
	.set _ZN9rocsparseL12csrsv_kernelILj1024ELj64ELb0ElidEEvT3_NS_24const_host_device_scalarIT4_EEPKT2_PKS1_PKS3_SB_lPS3_PiS9_iPS1_21rocsparse_index_base_20rocsparse_fill_mode_20rocsparse_diag_type_b.numbered_sgpr, 30
	.set _ZN9rocsparseL12csrsv_kernelILj1024ELj64ELb0ElidEEvT3_NS_24const_host_device_scalarIT4_EEPKT2_PKS1_PKS3_SB_lPS3_PiS9_iPS1_21rocsparse_index_base_20rocsparse_fill_mode_20rocsparse_diag_type_b.num_named_barrier, 0
	.set _ZN9rocsparseL12csrsv_kernelILj1024ELj64ELb0ElidEEvT3_NS_24const_host_device_scalarIT4_EEPKT2_PKS1_PKS3_SB_lPS3_PiS9_iPS1_21rocsparse_index_base_20rocsparse_fill_mode_20rocsparse_diag_type_b.private_seg_size, 0
	.set _ZN9rocsparseL12csrsv_kernelILj1024ELj64ELb0ElidEEvT3_NS_24const_host_device_scalarIT4_EEPKT2_PKS1_PKS3_SB_lPS3_PiS9_iPS1_21rocsparse_index_base_20rocsparse_fill_mode_20rocsparse_diag_type_b.uses_vcc, 1
	.set _ZN9rocsparseL12csrsv_kernelILj1024ELj64ELb0ElidEEvT3_NS_24const_host_device_scalarIT4_EEPKT2_PKS1_PKS3_SB_lPS3_PiS9_iPS1_21rocsparse_index_base_20rocsparse_fill_mode_20rocsparse_diag_type_b.uses_flat_scratch, 0
	.set _ZN9rocsparseL12csrsv_kernelILj1024ELj64ELb0ElidEEvT3_NS_24const_host_device_scalarIT4_EEPKT2_PKS1_PKS3_SB_lPS3_PiS9_iPS1_21rocsparse_index_base_20rocsparse_fill_mode_20rocsparse_diag_type_b.has_dyn_sized_stack, 0
	.set _ZN9rocsparseL12csrsv_kernelILj1024ELj64ELb0ElidEEvT3_NS_24const_host_device_scalarIT4_EEPKT2_PKS1_PKS3_SB_lPS3_PiS9_iPS1_21rocsparse_index_base_20rocsparse_fill_mode_20rocsparse_diag_type_b.has_recursion, 0
	.set _ZN9rocsparseL12csrsv_kernelILj1024ELj64ELb0ElidEEvT3_NS_24const_host_device_scalarIT4_EEPKT2_PKS1_PKS3_SB_lPS3_PiS9_iPS1_21rocsparse_index_base_20rocsparse_fill_mode_20rocsparse_diag_type_b.has_indirect_call, 0
	.section	.AMDGPU.csdata,"",@progbits
; Kernel info:
; codeLenInByte = 1624
; TotalNumSgprs: 32
; NumVgprs: 18
; ScratchSize: 0
; MemoryBound: 0
; FloatMode: 240
; IeeeMode: 1
; LDSByteSize: 128 bytes/workgroup (compile time only)
; SGPRBlocks: 0
; VGPRBlocks: 2
; NumSGPRsForWavesPerEU: 32
; NumVGPRsForWavesPerEU: 18
; Occupancy: 16
; WaveLimiterHint : 1
; COMPUTE_PGM_RSRC2:SCRATCH_EN: 0
; COMPUTE_PGM_RSRC2:USER_SGPR: 6
; COMPUTE_PGM_RSRC2:TRAP_HANDLER: 0
; COMPUTE_PGM_RSRC2:TGID_X_EN: 1
; COMPUTE_PGM_RSRC2:TGID_Y_EN: 0
; COMPUTE_PGM_RSRC2:TGID_Z_EN: 0
; COMPUTE_PGM_RSRC2:TIDIG_COMP_CNT: 0
	.section	.text._ZN9rocsparseL12csrsv_kernelILj1024ELj64ELb1Eli21rocsparse_complex_numIfEEEvT3_NS_24const_host_device_scalarIT4_EEPKT2_PKS3_PKS5_SD_lPS5_PiSB_iPS3_21rocsparse_index_base_20rocsparse_fill_mode_20rocsparse_diag_type_b,"axG",@progbits,_ZN9rocsparseL12csrsv_kernelILj1024ELj64ELb1Eli21rocsparse_complex_numIfEEEvT3_NS_24const_host_device_scalarIT4_EEPKT2_PKS3_PKS5_SD_lPS5_PiSB_iPS3_21rocsparse_index_base_20rocsparse_fill_mode_20rocsparse_diag_type_b,comdat
	.globl	_ZN9rocsparseL12csrsv_kernelILj1024ELj64ELb1Eli21rocsparse_complex_numIfEEEvT3_NS_24const_host_device_scalarIT4_EEPKT2_PKS3_PKS5_SD_lPS5_PiSB_iPS3_21rocsparse_index_base_20rocsparse_fill_mode_20rocsparse_diag_type_b ; -- Begin function _ZN9rocsparseL12csrsv_kernelILj1024ELj64ELb1Eli21rocsparse_complex_numIfEEEvT3_NS_24const_host_device_scalarIT4_EEPKT2_PKS3_PKS5_SD_lPS5_PiSB_iPS3_21rocsparse_index_base_20rocsparse_fill_mode_20rocsparse_diag_type_b
	.p2align	8
	.type	_ZN9rocsparseL12csrsv_kernelILj1024ELj64ELb1Eli21rocsparse_complex_numIfEEEvT3_NS_24const_host_device_scalarIT4_EEPKT2_PKS3_PKS5_SD_lPS5_PiSB_iPS3_21rocsparse_index_base_20rocsparse_fill_mode_20rocsparse_diag_type_b,@function
_ZN9rocsparseL12csrsv_kernelILj1024ELj64ELb1Eli21rocsparse_complex_numIfEEEvT3_NS_24const_host_device_scalarIT4_EEPKT2_PKS3_PKS5_SD_lPS5_PiSB_iPS3_21rocsparse_index_base_20rocsparse_fill_mode_20rocsparse_diag_type_b: ; @_ZN9rocsparseL12csrsv_kernelILj1024ELj64ELb1Eli21rocsparse_complex_numIfEEEvT3_NS_24const_host_device_scalarIT4_EEPKT2_PKS3_PKS5_SD_lPS5_PiSB_iPS3_21rocsparse_index_base_20rocsparse_fill_mode_20rocsparse_diag_type_b
; %bb.0:
	s_clause 0x1
	s_load_dwordx4 s[8:11], s[4:5], 0x60
	s_load_dwordx2 s[20:21], s[4:5], 0x8
	s_waitcnt lgkmcnt(0)
	s_bitcmp1_b32 s11, 0
	s_mov_b32 s7, s20
	s_cselect_b32 s1, -1, 0
	s_xor_b32 s0, s1, -1
	s_and_b32 vcc_lo, exec_lo, s1
	s_cbranch_vccnz .LBB18_2
; %bb.1:
	s_load_dword s7, s[20:21], 0x0
.LBB18_2:
	s_andn2_b32 vcc_lo, exec_lo, s0
	s_cbranch_vccnz .LBB18_4
; %bb.3:
	s_load_dword s21, s[20:21], 0x4
.LBB18_4:
	s_load_dword s1, s[4:5], 0x0
	v_readfirstlane_b32 s0, v0
	s_lshr_b32 s11, s0, 6
	s_lshl_b32 s0, s6, 4
	s_add_i32 s0, s11, s0
	s_waitcnt lgkmcnt(0)
	s_cmp_ge_i32 s0, s1
	s_cbranch_scc1 .LBB18_51
; %bb.5:
	s_clause 0x2
	s_load_dword s1, s[4:5], 0x50
	s_load_dwordx2 s[2:3], s[4:5], 0x48
	s_load_dwordx4 s[12:15], s[4:5], 0x38
	v_and_b32_e32 v8, 63, v0
	v_mov_b32_e32 v9, 0
	v_mov_b32_e32 v10, 0
	s_mov_b32 s6, exec_lo
	s_waitcnt lgkmcnt(0)
	s_add_i32 s0, s0, s1
	s_ashr_i32 s1, s0, 31
	s_lshl_b64 s[0:1], s[0:1], 2
	s_add_u32 s0, s2, s0
	s_addc_u32 s1, s3, s1
	s_load_dword s16, s[0:1], 0x0
	s_load_dwordx2 s[0:1], s[4:5], 0x10
	s_waitcnt lgkmcnt(0)
	s_ashr_i32 s17, s16, 31
	s_lshl_b64 s[18:19], s[16:17], 3
	s_add_u32 s0, s0, s18
	s_addc_u32 s1, s1, s19
	s_load_dwordx4 s[0:3], s[0:1], 0x0
	v_cmpx_eq_u32_e32 0, v8
	s_cbranch_execz .LBB18_7
; %bb.6:
	s_load_dwordx4 s[24:27], s[4:5], 0x28
	s_waitcnt lgkmcnt(0)
	s_mul_i32 s20, s26, s17
	s_mul_hi_u32 s22, s26, s16
	s_mul_i32 s23, s27, s16
	s_add_i32 s20, s22, s20
	s_mul_i32 s22, s26, s16
	s_add_i32 s23, s20, s23
	s_lshl_b64 s[22:23], s[22:23], 3
	s_add_u32 s22, s24, s22
	s_addc_u32 s23, s25, s23
	s_load_dwordx2 s[22:23], s[22:23], 0x0
	s_waitcnt lgkmcnt(0)
	v_mul_f32_e64 v9, s23, -s21
	v_mul_f32_e64 v10, s23, s7
	v_fmac_f32_e64 v9, s7, s22
	v_fmac_f32_e64 v10, s21, s22
.LBB18_7:
	s_or_b32 exec_lo, exec_lo, s6
	v_sub_co_u32 v0, s6, v8, s8
	v_sub_co_ci_u32_e64 v1, null, 0, 0, s6
	s_waitcnt lgkmcnt(0)
	s_sub_u32 s2, s2, s8
	v_add_co_u32 v0, vcc_lo, s0, v0
	v_add_co_ci_u32_e64 v1, null, s1, v1, vcc_lo
	s_subb_u32 s3, s3, 0
	s_mov_b32 s22, exec_lo
	v_cmpx_gt_i64_e64 s[2:3], v[0:1]
	s_cbranch_execz .LBB18_47
; %bb.8:
	s_clause 0x1
	s_load_dwordx2 s[20:21], s[4:5], 0x58
	s_load_dwordx4 s[4:7], s[4:5], 0x18
	v_mov_b32_e32 v11, 0
	s_cmp_eq_u32 s10, 0
	s_mov_b32 s24, 0
	s_cselect_b32 s23, -1, 0
	s_add_i32 s25, s16, s8
	s_lshl_b32 s26, s11, 3
	s_branch .LBB18_10
.LBB18_9:                               ;   in Loop: Header=BB18_10 Depth=1
	s_or_b32 exec_lo, exec_lo, s1
	s_and_b32 s0, exec_lo, s0
	s_or_b32 s24, s0, s24
	s_andn2_b32 exec_lo, exec_lo, s24
	s_cbranch_execz .LBB18_46
.LBB18_10:                              ; =>This Loop Header: Depth=1
                                        ;     Child Loop BB18_35 Depth 2
                                        ;       Child Loop BB18_36 Depth 3
	v_lshlrev_b64 v[2:3], 2, v[0:1]
	v_lshlrev_b64 v[4:5], 3, v[0:1]
	s_waitcnt lgkmcnt(0)
	v_add_co_u32 v2, vcc_lo, s4, v2
	v_add_co_ci_u32_e64 v3, null, s5, v3, vcc_lo
	v_add_co_u32 v4, vcc_lo, s6, v4
	v_add_co_ci_u32_e64 v5, null, s7, v5, vcc_lo
	global_load_dword v6, v[2:3], off slc
	global_load_dwordx2 v[2:3], v[4:5], off slc
	s_waitcnt vmcnt(1)
	v_subrev_nc_u32_e32 v4, s8, v6
	s_waitcnt vmcnt(0)
	v_cmp_eq_f32_e64 s0, 0, v2
	v_cmp_eq_f32_e64 s1, 0, v3
	v_cmp_eq_u32_e32 vcc_lo, s16, v4
	s_and_b32 s1, s0, s1
	v_cmp_ne_u32_e64 s0, s16, v4
	s_and_b32 s1, s1, vcc_lo
	s_and_b32 s1, s23, s1
	s_and_saveexec_b32 s27, s1
	s_cbranch_execz .LBB18_14
; %bb.11:                               ;   in Loop: Header=BB18_10 Depth=1
	v_mbcnt_lo_u32_b32 v2, exec_lo, 0
	s_mov_b32 s28, exec_lo
	v_cmpx_eq_u32_e32 0, v2
	s_cbranch_execz .LBB18_13
; %bb.12:                               ;   in Loop: Header=BB18_10 Depth=1
	v_mov_b32_e32 v2, s25
	global_atomic_smin v11, v2, s[20:21]
.LBB18_13:                              ;   in Loop: Header=BB18_10 Depth=1
	s_or_b32 exec_lo, exec_lo, s28
	v_mov_b32_e32 v3, 0
	v_mov_b32_e32 v2, 1.0
.LBB18_14:                              ;   in Loop: Header=BB18_10 Depth=1
	s_or_b32 exec_lo, exec_lo, s27
	s_mov_b32 s1, -1
	s_mov_b32 s27, 0
	s_cmp_lt_i32 s9, 1
	s_mov_b32 s28, 0
	s_cbranch_scc1 .LBB18_24
; %bb.15:                               ;   in Loop: Header=BB18_10 Depth=1
	s_cmp_eq_u32 s9, 1
	s_mov_b32 s28, -1
	s_cbranch_scc0 .LBB18_23
; %bb.16:                               ;   in Loop: Header=BB18_10 Depth=1
	s_mov_b32 s28, 0
	s_mov_b32 s29, exec_lo
	v_cmpx_le_i32_e64 s16, v4
	s_cbranch_execz .LBB18_22
; %bb.17:                               ;   in Loop: Header=BB18_10 Depth=1
	s_mov_b32 s28, -1
	s_and_saveexec_b32 s1, vcc_lo
	s_xor_b32 s1, exec_lo, s1
	s_cbranch_execz .LBB18_21
; %bb.18:                               ;   in Loop: Header=BB18_10 Depth=1
	s_andn2_b32 vcc_lo, exec_lo, s23
	s_cbranch_vccnz .LBB18_20
; %bb.19:                               ;   in Loop: Header=BB18_10 Depth=1
	v_mul_f32_e32 v5, v3, v3
	v_fmac_f32_e32 v5, v2, v2
	v_div_scale_f32 v6, null, v5, v5, 1.0
	v_div_scale_f32 v13, vcc_lo, 1.0, v5, 1.0
	v_rcp_f32_e32 v7, v6
	v_fma_f32 v12, -v6, v7, 1.0
	v_fmac_f32_e32 v7, v12, v7
	v_mul_f32_e32 v12, v13, v7
	v_fma_f32 v14, -v6, v12, v13
	v_fmac_f32_e32 v12, v14, v7
	v_fma_f32 v6, -v6, v12, v13
	v_div_fmas_f32 v6, v6, v7, v12
	v_fma_f32 v7, 0, v3, v2
	v_fma_f32 v12, v2, 0, -v3
	v_div_fixup_f32 v6, v6, v5, 1.0
	v_mul_f32_e32 v5, v7, v6
	v_mul_f32_e32 v6, v12, v6
	v_mov_b32_e32 v7, s26
	ds_write_b64 v7, v[5:6]
.LBB18_20:                              ;   in Loop: Header=BB18_10 Depth=1
	s_xor_b32 s28, exec_lo, -1
.LBB18_21:                              ;   in Loop: Header=BB18_10 Depth=1
	s_or_b32 exec_lo, exec_lo, s1
	s_and_b32 s28, s28, exec_lo
.LBB18_22:                              ;   in Loop: Header=BB18_10 Depth=1
	s_or_b32 exec_lo, exec_lo, s29
.LBB18_23:                              ;   in Loop: Header=BB18_10 Depth=1
	s_mov_b32 s1, 0
.LBB18_24:                              ;   in Loop: Header=BB18_10 Depth=1
	s_and_b32 vcc_lo, exec_lo, s1
	s_mov_b32 s1, 4
	s_cbranch_vccz .LBB18_31
; %bb.25:                               ;   in Loop: Header=BB18_10 Depth=1
	s_cmp_eq_u32 s9, 0
	s_cbranch_scc1 .LBB18_27
; %bb.26:                               ;   in Loop: Header=BB18_10 Depth=1
	s_mov_b32 s28, -1
	s_branch .LBB18_30
.LBB18_27:                              ;   in Loop: Header=BB18_10 Depth=1
	s_mov_b32 s28, 0
	s_mov_b32 s1, exec_lo
	v_cmpx_ge_i32_e64 s16, v4
; %bb.28:                               ;   in Loop: Header=BB18_10 Depth=1
	s_mov_b32 s27, exec_lo
	s_and_b32 s28, s0, exec_lo
; %bb.29:                               ;   in Loop: Header=BB18_10 Depth=1
	s_or_b32 exec_lo, exec_lo, s1
.LBB18_30:                              ;   in Loop: Header=BB18_10 Depth=1
	s_mov_b32 s1, 2
.LBB18_31:                              ;   in Loop: Header=BB18_10 Depth=1
	v_mov_b32_e32 v5, s1
	v_mov_b32_e32 v7, v10
	;; [unrolled: 1-line block ×3, first 2 shown]
	s_and_saveexec_b32 s0, s28
	s_cbranch_execz .LBB18_38
; %bb.32:                               ;   in Loop: Header=BB18_10 Depth=1
	v_ashrrev_i32_e32 v5, 31, v4
	s_mov_b32 s1, exec_lo
	v_lshlrev_b64 v[6:7], 2, v[4:5]
	v_add_co_u32 v6, vcc_lo, s14, v6
	v_add_co_ci_u32_e64 v7, null, s15, v7, vcc_lo
	global_load_dword v12, v[6:7], off glc dlc
	s_waitcnt vmcnt(0)
	v_cmpx_eq_u32_e32 0, v12
	s_cbranch_execz .LBB18_37
; %bb.33:                               ;   in Loop: Header=BB18_10 Depth=1
	s_mov_b32 s28, 0
	s_mov_b32 s29, 0
	s_branch .LBB18_35
	.p2align	6
.LBB18_34:                              ;   in Loop: Header=BB18_35 Depth=2
	global_load_dword v12, v[6:7], off glc dlc
	s_cmpk_lt_u32 s29, 0xf43
	s_cselect_b32 s30, -1, 0
	s_cmp_lg_u32 s30, 0
	s_addc_u32 s29, s29, 0
	s_waitcnt vmcnt(0)
	v_cmp_ne_u32_e32 vcc_lo, 0, v12
	s_or_b32 s28, vcc_lo, s28
	s_andn2_b32 exec_lo, exec_lo, s28
	s_cbranch_execz .LBB18_37
.LBB18_35:                              ;   Parent Loop BB18_10 Depth=1
                                        ; =>  This Loop Header: Depth=2
                                        ;       Child Loop BB18_36 Depth 3
	s_cmp_eq_u32 s29, 0
	s_mov_b32 s30, s29
	s_cbranch_scc1 .LBB18_34
.LBB18_36:                              ;   Parent Loop BB18_10 Depth=1
                                        ;     Parent Loop BB18_35 Depth=2
                                        ; =>    This Inner Loop Header: Depth=3
	s_add_i32 s30, s30, -1
	s_sleep 1
	s_cmp_eq_u32 s30, 0
	s_cbranch_scc0 .LBB18_36
	s_branch .LBB18_34
.LBB18_37:                              ;   in Loop: Header=BB18_10 Depth=1
	s_or_b32 exec_lo, exec_lo, s1
	v_lshlrev_b64 v[4:5], 3, v[4:5]
	s_waitcnt lgkmcnt(0)
	s_waitcnt_vscnt null, 0x0
	buffer_gl1_inv
	buffer_gl0_inv
	s_andn2_b32 s27, s27, exec_lo
	v_add_co_u32 v4, vcc_lo, s12, v4
	v_add_co_ci_u32_e64 v5, null, s13, v5, vcc_lo
	global_load_dwordx2 v[4:5], v[4:5], off
	s_waitcnt vmcnt(0)
	v_fma_f32 v6, -v2, v4, v9
	v_fma_f32 v4, -v3, v4, v10
	v_fmac_f32_e32 v6, v3, v5
	v_fma_f32 v7, -v2, v5, v4
	v_mov_b32_e32 v5, 0
.LBB18_38:                              ;   in Loop: Header=BB18_10 Depth=1
	s_or_b32 exec_lo, exec_lo, s0
	s_and_saveexec_b32 s0, s27
	s_cbranch_execz .LBB18_42
; %bb.39:                               ;   in Loop: Header=BB18_10 Depth=1
	s_andn2_b32 vcc_lo, exec_lo, s23
	s_cbranch_vccnz .LBB18_41
; %bb.40:                               ;   in Loop: Header=BB18_10 Depth=1
	v_mul_f32_e32 v4, v3, v3
	v_fmac_f32_e32 v4, v2, v2
	v_div_scale_f32 v5, null, v4, v4, 1.0
	v_div_scale_f32 v12, vcc_lo, 1.0, v4, 1.0
	v_rcp_f32_e32 v6, v5
	v_fma_f32 v7, -v5, v6, 1.0
	v_fmac_f32_e32 v6, v7, v6
	v_mul_f32_e32 v7, v12, v6
	v_fma_f32 v13, -v5, v7, v12
	v_fmac_f32_e32 v7, v13, v6
	v_fma_f32 v5, -v5, v7, v12
	v_div_fmas_f32 v5, v5, v6, v7
	v_fma_f32 v6, 0, v3, v2
	v_fma_f32 v3, v2, 0, -v3
	v_div_fixup_f32 v4, v5, v4, 1.0
	v_mul_f32_e32 v2, v6, v4
	v_mul_f32_e32 v3, v3, v4
	v_mov_b32_e32 v4, s26
	ds_write_b64 v4, v[2:3]
.LBB18_41:                              ;   in Loop: Header=BB18_10 Depth=1
	v_mov_b32_e32 v5, 2
	v_mov_b32_e32 v6, v9
	;; [unrolled: 1-line block ×3, first 2 shown]
.LBB18_42:                              ;   in Loop: Header=BB18_10 Depth=1
	s_or_b32 exec_lo, exec_lo, s0
	v_mov_b32_e32 v10, v7
	v_mov_b32_e32 v9, v6
	s_mov_b32 s0, -1
	s_mov_b32 s27, -1
	s_mov_b32 s1, exec_lo
	v_cmpx_gt_i32_e32 4, v5
; %bb.43:                               ;   in Loop: Header=BB18_10 Depth=1
	v_cmp_eq_u32_e32 vcc_lo, 0, v5
	s_orn2_b32 s27, vcc_lo, exec_lo
; %bb.44:                               ;   in Loop: Header=BB18_10 Depth=1
	s_or_b32 exec_lo, exec_lo, s1
	s_and_saveexec_b32 s1, s27
	s_cbranch_execz .LBB18_9
; %bb.45:                               ;   in Loop: Header=BB18_10 Depth=1
	v_add_co_u32 v0, vcc_lo, v0, 64
	v_add_co_ci_u32_e64 v1, null, 0, v1, vcc_lo
	v_cmp_le_i64_e32 vcc_lo, s[2:3], v[0:1]
	s_orn2_b32 s0, vcc_lo, exec_lo
	s_branch .LBB18_9
.LBB18_46:
	s_or_b32 exec_lo, exec_lo, s24
.LBB18_47:
	s_or_b32 exec_lo, exec_lo, s22
	v_mbcnt_lo_u32_b32 v0, -1, 0
	s_cmp_lg_u32 s10, 0
	v_or_b32_e32 v1, 32, v0
	v_xor_b32_e32 v3, 16, v0
	v_xor_b32_e32 v5, 8, v0
	v_cmp_gt_i32_e32 vcc_lo, 32, v1
	v_cndmask_b32_e32 v1, v0, v1, vcc_lo
	v_cmp_gt_i32_e32 vcc_lo, 32, v3
	v_lshlrev_b32_e32 v1, 2, v1
	v_cndmask_b32_e32 v3, v0, v3, vcc_lo
	v_cmp_gt_i32_e32 vcc_lo, 32, v5
	ds_bpermute_b32 v2, v1, v9
	ds_bpermute_b32 v1, v1, v10
	v_lshlrev_b32_e32 v3, 2, v3
	v_cndmask_b32_e32 v5, v0, v5, vcc_lo
	v_lshlrev_b32_e32 v5, 2, v5
	s_waitcnt lgkmcnt(1)
	v_add_f32_e32 v2, v9, v2
	s_waitcnt lgkmcnt(0)
	v_add_f32_e32 v1, v10, v1
	ds_bpermute_b32 v4, v3, v2
	ds_bpermute_b32 v3, v3, v1
	s_waitcnt lgkmcnt(1)
	v_add_f32_e32 v2, v2, v4
	s_waitcnt lgkmcnt(0)
	v_add_f32_e32 v1, v1, v3
	ds_bpermute_b32 v3, v5, v2
	ds_bpermute_b32 v4, v5, v1
	v_xor_b32_e32 v5, 4, v0
	v_cmp_gt_i32_e32 vcc_lo, 32, v5
	v_cndmask_b32_e32 v5, v0, v5, vcc_lo
	v_lshlrev_b32_e32 v5, 2, v5
	s_waitcnt lgkmcnt(1)
	v_add_f32_e32 v2, v2, v3
	s_waitcnt lgkmcnt(0)
	v_add_f32_e32 v1, v1, v4
	ds_bpermute_b32 v3, v5, v2
	ds_bpermute_b32 v4, v5, v1
	v_xor_b32_e32 v5, 2, v0
	v_cmp_gt_i32_e32 vcc_lo, 32, v5
	v_cndmask_b32_e32 v5, v0, v5, vcc_lo
	v_lshlrev_b32_e32 v5, 2, v5
	;; [unrolled: 10-line block ×3, first 2 shown]
	s_waitcnt lgkmcnt(1)
	v_add_f32_e32 v2, v2, v3
	s_waitcnt lgkmcnt(0)
	v_add_f32_e32 v1, v1, v4
	ds_bpermute_b32 v3, v0, v2
	ds_bpermute_b32 v4, v0, v1
	s_waitcnt lgkmcnt(1)
	v_add_f32_e32 v0, v2, v3
	s_waitcnt lgkmcnt(0)
	v_add_f32_e32 v1, v1, v4
	s_cbranch_scc1 .LBB18_49
; %bb.48:
	s_lshl_b32 s0, s11, 3
	s_waitcnt_vscnt null, 0x0
	buffer_gl0_inv
	v_mov_b32_e32 v2, s0
	ds_read_b64 v[2:3], v2
	s_waitcnt lgkmcnt(0)
	v_mul_f32_e64 v4, v3, -v1
	v_mul_f32_e32 v3, v0, v3
	v_fmac_f32_e32 v4, v0, v2
	v_fmac_f32_e32 v3, v1, v2
	v_mov_b32_e32 v0, v4
	v_mov_b32_e32 v1, v3
.LBB18_49:
	s_mov_b32 s0, exec_lo
	v_cmpx_eq_u32_e32 63, v8
	s_cbranch_execz .LBB18_51
; %bb.50:
	s_add_u32 s0, s12, s18
	v_mov_b32_e32 v2, 0
	s_addc_u32 s1, s13, s19
	s_lshl_b64 s[2:3], s[16:17], 2
	v_mov_b32_e32 v3, 1
	s_add_u32 s2, s14, s2
	s_addc_u32 s3, s15, s3
	global_store_dwordx2 v2, v[0:1], s[0:1] glc slc
	s_waitcnt_vscnt null, 0x0
	global_store_dword v2, v3, s[2:3]
.LBB18_51:
	s_endpgm
	.section	.rodata,"a",@progbits
	.p2align	6, 0x0
	.amdhsa_kernel _ZN9rocsparseL12csrsv_kernelILj1024ELj64ELb1Eli21rocsparse_complex_numIfEEEvT3_NS_24const_host_device_scalarIT4_EEPKT2_PKS3_PKS5_SD_lPS5_PiSB_iPS3_21rocsparse_index_base_20rocsparse_fill_mode_20rocsparse_diag_type_b
		.amdhsa_group_segment_fixed_size 128
		.amdhsa_private_segment_fixed_size 0
		.amdhsa_kernarg_size 112
		.amdhsa_user_sgpr_count 6
		.amdhsa_user_sgpr_private_segment_buffer 1
		.amdhsa_user_sgpr_dispatch_ptr 0
		.amdhsa_user_sgpr_queue_ptr 0
		.amdhsa_user_sgpr_kernarg_segment_ptr 1
		.amdhsa_user_sgpr_dispatch_id 0
		.amdhsa_user_sgpr_flat_scratch_init 0
		.amdhsa_user_sgpr_private_segment_size 0
		.amdhsa_wavefront_size32 1
		.amdhsa_uses_dynamic_stack 0
		.amdhsa_system_sgpr_private_segment_wavefront_offset 0
		.amdhsa_system_sgpr_workgroup_id_x 1
		.amdhsa_system_sgpr_workgroup_id_y 0
		.amdhsa_system_sgpr_workgroup_id_z 0
		.amdhsa_system_sgpr_workgroup_info 0
		.amdhsa_system_vgpr_workitem_id 0
		.amdhsa_next_free_vgpr 15
		.amdhsa_next_free_sgpr 31
		.amdhsa_reserve_vcc 1
		.amdhsa_reserve_flat_scratch 0
		.amdhsa_float_round_mode_32 0
		.amdhsa_float_round_mode_16_64 0
		.amdhsa_float_denorm_mode_32 3
		.amdhsa_float_denorm_mode_16_64 3
		.amdhsa_dx10_clamp 1
		.amdhsa_ieee_mode 1
		.amdhsa_fp16_overflow 0
		.amdhsa_workgroup_processor_mode 1
		.amdhsa_memory_ordered 1
		.amdhsa_forward_progress 1
		.amdhsa_shared_vgpr_count 0
		.amdhsa_exception_fp_ieee_invalid_op 0
		.amdhsa_exception_fp_denorm_src 0
		.amdhsa_exception_fp_ieee_div_zero 0
		.amdhsa_exception_fp_ieee_overflow 0
		.amdhsa_exception_fp_ieee_underflow 0
		.amdhsa_exception_fp_ieee_inexact 0
		.amdhsa_exception_int_div_zero 0
	.end_amdhsa_kernel
	.section	.text._ZN9rocsparseL12csrsv_kernelILj1024ELj64ELb1Eli21rocsparse_complex_numIfEEEvT3_NS_24const_host_device_scalarIT4_EEPKT2_PKS3_PKS5_SD_lPS5_PiSB_iPS3_21rocsparse_index_base_20rocsparse_fill_mode_20rocsparse_diag_type_b,"axG",@progbits,_ZN9rocsparseL12csrsv_kernelILj1024ELj64ELb1Eli21rocsparse_complex_numIfEEEvT3_NS_24const_host_device_scalarIT4_EEPKT2_PKS3_PKS5_SD_lPS5_PiSB_iPS3_21rocsparse_index_base_20rocsparse_fill_mode_20rocsparse_diag_type_b,comdat
.Lfunc_end18:
	.size	_ZN9rocsparseL12csrsv_kernelILj1024ELj64ELb1Eli21rocsparse_complex_numIfEEEvT3_NS_24const_host_device_scalarIT4_EEPKT2_PKS3_PKS5_SD_lPS5_PiSB_iPS3_21rocsparse_index_base_20rocsparse_fill_mode_20rocsparse_diag_type_b, .Lfunc_end18-_ZN9rocsparseL12csrsv_kernelILj1024ELj64ELb1Eli21rocsparse_complex_numIfEEEvT3_NS_24const_host_device_scalarIT4_EEPKT2_PKS3_PKS5_SD_lPS5_PiSB_iPS3_21rocsparse_index_base_20rocsparse_fill_mode_20rocsparse_diag_type_b
                                        ; -- End function
	.set _ZN9rocsparseL12csrsv_kernelILj1024ELj64ELb1Eli21rocsparse_complex_numIfEEEvT3_NS_24const_host_device_scalarIT4_EEPKT2_PKS3_PKS5_SD_lPS5_PiSB_iPS3_21rocsparse_index_base_20rocsparse_fill_mode_20rocsparse_diag_type_b.num_vgpr, 15
	.set _ZN9rocsparseL12csrsv_kernelILj1024ELj64ELb1Eli21rocsparse_complex_numIfEEEvT3_NS_24const_host_device_scalarIT4_EEPKT2_PKS3_PKS5_SD_lPS5_PiSB_iPS3_21rocsparse_index_base_20rocsparse_fill_mode_20rocsparse_diag_type_b.num_agpr, 0
	.set _ZN9rocsparseL12csrsv_kernelILj1024ELj64ELb1Eli21rocsparse_complex_numIfEEEvT3_NS_24const_host_device_scalarIT4_EEPKT2_PKS3_PKS5_SD_lPS5_PiSB_iPS3_21rocsparse_index_base_20rocsparse_fill_mode_20rocsparse_diag_type_b.numbered_sgpr, 31
	.set _ZN9rocsparseL12csrsv_kernelILj1024ELj64ELb1Eli21rocsparse_complex_numIfEEEvT3_NS_24const_host_device_scalarIT4_EEPKT2_PKS3_PKS5_SD_lPS5_PiSB_iPS3_21rocsparse_index_base_20rocsparse_fill_mode_20rocsparse_diag_type_b.num_named_barrier, 0
	.set _ZN9rocsparseL12csrsv_kernelILj1024ELj64ELb1Eli21rocsparse_complex_numIfEEEvT3_NS_24const_host_device_scalarIT4_EEPKT2_PKS3_PKS5_SD_lPS5_PiSB_iPS3_21rocsparse_index_base_20rocsparse_fill_mode_20rocsparse_diag_type_b.private_seg_size, 0
	.set _ZN9rocsparseL12csrsv_kernelILj1024ELj64ELb1Eli21rocsparse_complex_numIfEEEvT3_NS_24const_host_device_scalarIT4_EEPKT2_PKS3_PKS5_SD_lPS5_PiSB_iPS3_21rocsparse_index_base_20rocsparse_fill_mode_20rocsparse_diag_type_b.uses_vcc, 1
	.set _ZN9rocsparseL12csrsv_kernelILj1024ELj64ELb1Eli21rocsparse_complex_numIfEEEvT3_NS_24const_host_device_scalarIT4_EEPKT2_PKS3_PKS5_SD_lPS5_PiSB_iPS3_21rocsparse_index_base_20rocsparse_fill_mode_20rocsparse_diag_type_b.uses_flat_scratch, 0
	.set _ZN9rocsparseL12csrsv_kernelILj1024ELj64ELb1Eli21rocsparse_complex_numIfEEEvT3_NS_24const_host_device_scalarIT4_EEPKT2_PKS3_PKS5_SD_lPS5_PiSB_iPS3_21rocsparse_index_base_20rocsparse_fill_mode_20rocsparse_diag_type_b.has_dyn_sized_stack, 0
	.set _ZN9rocsparseL12csrsv_kernelILj1024ELj64ELb1Eli21rocsparse_complex_numIfEEEvT3_NS_24const_host_device_scalarIT4_EEPKT2_PKS3_PKS5_SD_lPS5_PiSB_iPS3_21rocsparse_index_base_20rocsparse_fill_mode_20rocsparse_diag_type_b.has_recursion, 0
	.set _ZN9rocsparseL12csrsv_kernelILj1024ELj64ELb1Eli21rocsparse_complex_numIfEEEvT3_NS_24const_host_device_scalarIT4_EEPKT2_PKS3_PKS5_SD_lPS5_PiSB_iPS3_21rocsparse_index_base_20rocsparse_fill_mode_20rocsparse_diag_type_b.has_indirect_call, 0
	.section	.AMDGPU.csdata,"",@progbits
; Kernel info:
; codeLenInByte = 1860
; TotalNumSgprs: 33
; NumVgprs: 15
; ScratchSize: 0
; MemoryBound: 0
; FloatMode: 240
; IeeeMode: 1
; LDSByteSize: 128 bytes/workgroup (compile time only)
; SGPRBlocks: 0
; VGPRBlocks: 1
; NumSGPRsForWavesPerEU: 33
; NumVGPRsForWavesPerEU: 15
; Occupancy: 16
; WaveLimiterHint : 1
; COMPUTE_PGM_RSRC2:SCRATCH_EN: 0
; COMPUTE_PGM_RSRC2:USER_SGPR: 6
; COMPUTE_PGM_RSRC2:TRAP_HANDLER: 0
; COMPUTE_PGM_RSRC2:TGID_X_EN: 1
; COMPUTE_PGM_RSRC2:TGID_Y_EN: 0
; COMPUTE_PGM_RSRC2:TGID_Z_EN: 0
; COMPUTE_PGM_RSRC2:TIDIG_COMP_CNT: 0
	.section	.text._ZN9rocsparseL12csrsv_kernelILj1024ELj32ELb0Eli21rocsparse_complex_numIfEEEvT3_NS_24const_host_device_scalarIT4_EEPKT2_PKS3_PKS5_SD_lPS5_PiSB_iPS3_21rocsparse_index_base_20rocsparse_fill_mode_20rocsparse_diag_type_b,"axG",@progbits,_ZN9rocsparseL12csrsv_kernelILj1024ELj32ELb0Eli21rocsparse_complex_numIfEEEvT3_NS_24const_host_device_scalarIT4_EEPKT2_PKS3_PKS5_SD_lPS5_PiSB_iPS3_21rocsparse_index_base_20rocsparse_fill_mode_20rocsparse_diag_type_b,comdat
	.globl	_ZN9rocsparseL12csrsv_kernelILj1024ELj32ELb0Eli21rocsparse_complex_numIfEEEvT3_NS_24const_host_device_scalarIT4_EEPKT2_PKS3_PKS5_SD_lPS5_PiSB_iPS3_21rocsparse_index_base_20rocsparse_fill_mode_20rocsparse_diag_type_b ; -- Begin function _ZN9rocsparseL12csrsv_kernelILj1024ELj32ELb0Eli21rocsparse_complex_numIfEEEvT3_NS_24const_host_device_scalarIT4_EEPKT2_PKS3_PKS5_SD_lPS5_PiSB_iPS3_21rocsparse_index_base_20rocsparse_fill_mode_20rocsparse_diag_type_b
	.p2align	8
	.type	_ZN9rocsparseL12csrsv_kernelILj1024ELj32ELb0Eli21rocsparse_complex_numIfEEEvT3_NS_24const_host_device_scalarIT4_EEPKT2_PKS3_PKS5_SD_lPS5_PiSB_iPS3_21rocsparse_index_base_20rocsparse_fill_mode_20rocsparse_diag_type_b,@function
_ZN9rocsparseL12csrsv_kernelILj1024ELj32ELb0Eli21rocsparse_complex_numIfEEEvT3_NS_24const_host_device_scalarIT4_EEPKT2_PKS3_PKS5_SD_lPS5_PiSB_iPS3_21rocsparse_index_base_20rocsparse_fill_mode_20rocsparse_diag_type_b: ; @_ZN9rocsparseL12csrsv_kernelILj1024ELj32ELb0Eli21rocsparse_complex_numIfEEEvT3_NS_24const_host_device_scalarIT4_EEPKT2_PKS3_PKS5_SD_lPS5_PiSB_iPS3_21rocsparse_index_base_20rocsparse_fill_mode_20rocsparse_diag_type_b
; %bb.0:
	s_clause 0x1
	s_load_dwordx4 s[8:11], s[4:5], 0x60
	s_load_dwordx2 s[20:21], s[4:5], 0x8
	s_waitcnt lgkmcnt(0)
	s_bitcmp1_b32 s11, 0
	s_mov_b32 s7, s20
	s_cselect_b32 s1, -1, 0
	s_xor_b32 s0, s1, -1
	s_and_b32 vcc_lo, exec_lo, s1
	s_cbranch_vccnz .LBB19_2
; %bb.1:
	s_load_dword s7, s[20:21], 0x0
.LBB19_2:
	s_andn2_b32 vcc_lo, exec_lo, s0
	s_cbranch_vccnz .LBB19_4
; %bb.3:
	s_load_dword s21, s[20:21], 0x4
.LBB19_4:
	s_load_dword s1, s[4:5], 0x0
	v_readfirstlane_b32 s0, v0
	s_lshr_b32 s11, s0, 5
	s_lshl_b32 s0, s6, 5
	s_add_i32 s0, s11, s0
	s_waitcnt lgkmcnt(0)
	s_cmp_ge_i32 s0, s1
	s_cbranch_scc1 .LBB19_49
; %bb.5:
	s_clause 0x2
	s_load_dword s1, s[4:5], 0x50
	s_load_dwordx2 s[2:3], s[4:5], 0x48
	s_load_dwordx4 s[12:15], s[4:5], 0x38
	v_and_b32_e32 v8, 31, v0
	v_mov_b32_e32 v9, 0
	v_mov_b32_e32 v10, 0
	s_mov_b32 s6, exec_lo
	s_waitcnt lgkmcnt(0)
	s_add_i32 s0, s0, s1
	s_ashr_i32 s1, s0, 31
	s_lshl_b64 s[0:1], s[0:1], 2
	s_add_u32 s0, s2, s0
	s_addc_u32 s1, s3, s1
	s_load_dword s16, s[0:1], 0x0
	s_load_dwordx2 s[0:1], s[4:5], 0x10
	s_waitcnt lgkmcnt(0)
	s_ashr_i32 s17, s16, 31
	s_lshl_b64 s[18:19], s[16:17], 3
	s_add_u32 s0, s0, s18
	s_addc_u32 s1, s1, s19
	s_load_dwordx4 s[0:3], s[0:1], 0x0
	v_cmpx_eq_u32_e32 0, v8
	s_cbranch_execz .LBB19_7
; %bb.6:
	s_load_dwordx4 s[24:27], s[4:5], 0x28
	s_waitcnt lgkmcnt(0)
	s_mul_i32 s20, s26, s17
	s_mul_hi_u32 s22, s26, s16
	s_mul_i32 s23, s27, s16
	s_add_i32 s20, s22, s20
	s_mul_i32 s22, s26, s16
	s_add_i32 s23, s20, s23
	s_lshl_b64 s[22:23], s[22:23], 3
	s_add_u32 s22, s24, s22
	s_addc_u32 s23, s25, s23
	s_load_dwordx2 s[22:23], s[22:23], 0x0
	s_waitcnt lgkmcnt(0)
	v_mul_f32_e64 v9, s23, -s21
	v_mul_f32_e64 v10, s23, s7
	v_fmac_f32_e64 v9, s7, s22
	v_fmac_f32_e64 v10, s21, s22
.LBB19_7:
	s_or_b32 exec_lo, exec_lo, s6
	v_sub_co_u32 v0, s6, v8, s8
	v_sub_co_ci_u32_e64 v1, null, 0, 0, s6
	s_waitcnt lgkmcnt(0)
	s_sub_u32 s2, s2, s8
	v_add_co_u32 v0, vcc_lo, s0, v0
	v_add_co_ci_u32_e64 v1, null, s1, v1, vcc_lo
	s_subb_u32 s3, s3, 0
	s_mov_b32 s22, exec_lo
	v_cmpx_gt_i64_e64 s[2:3], v[0:1]
	s_cbranch_execz .LBB19_45
; %bb.8:
	s_clause 0x1
	s_load_dwordx2 s[20:21], s[4:5], 0x58
	s_load_dwordx4 s[4:7], s[4:5], 0x18
	v_mov_b32_e32 v11, 0
	s_cmp_eq_u32 s10, 0
	s_mov_b32 s24, 0
	s_cselect_b32 s23, -1, 0
	s_add_i32 s25, s16, s8
	s_lshl_b32 s26, s11, 3
	s_branch .LBB19_10
.LBB19_9:                               ;   in Loop: Header=BB19_10 Depth=1
	s_or_b32 exec_lo, exec_lo, s1
	s_and_b32 s0, exec_lo, s0
	s_or_b32 s24, s0, s24
	s_andn2_b32 exec_lo, exec_lo, s24
	s_cbranch_execz .LBB19_44
.LBB19_10:                              ; =>This Loop Header: Depth=1
                                        ;     Child Loop BB19_34 Depth 2
	v_lshlrev_b64 v[2:3], 2, v[0:1]
	v_lshlrev_b64 v[4:5], 3, v[0:1]
	s_waitcnt lgkmcnt(0)
	v_add_co_u32 v2, vcc_lo, s4, v2
	v_add_co_ci_u32_e64 v3, null, s5, v3, vcc_lo
	v_add_co_u32 v4, vcc_lo, s6, v4
	v_add_co_ci_u32_e64 v5, null, s7, v5, vcc_lo
	global_load_dword v6, v[2:3], off slc
	global_load_dwordx2 v[2:3], v[4:5], off slc
	s_waitcnt vmcnt(1)
	v_subrev_nc_u32_e32 v4, s8, v6
	s_waitcnt vmcnt(0)
	v_cmp_eq_f32_e64 s0, 0, v2
	v_cmp_eq_f32_e64 s1, 0, v3
	v_cmp_eq_u32_e32 vcc_lo, s16, v4
	s_and_b32 s1, s0, s1
	v_cmp_ne_u32_e64 s0, s16, v4
	s_and_b32 s1, s1, vcc_lo
	s_and_b32 s1, s23, s1
	s_and_saveexec_b32 s27, s1
	s_cbranch_execz .LBB19_14
; %bb.11:                               ;   in Loop: Header=BB19_10 Depth=1
	v_mbcnt_lo_u32_b32 v2, exec_lo, 0
	s_mov_b32 s28, exec_lo
	v_cmpx_eq_u32_e32 0, v2
	s_cbranch_execz .LBB19_13
; %bb.12:                               ;   in Loop: Header=BB19_10 Depth=1
	v_mov_b32_e32 v2, s25
	global_atomic_smin v11, v2, s[20:21]
.LBB19_13:                              ;   in Loop: Header=BB19_10 Depth=1
	s_or_b32 exec_lo, exec_lo, s28
	v_mov_b32_e32 v3, 0
	v_mov_b32_e32 v2, 1.0
.LBB19_14:                              ;   in Loop: Header=BB19_10 Depth=1
	s_or_b32 exec_lo, exec_lo, s27
	s_mov_b32 s1, -1
	s_mov_b32 s27, 0
	s_cmp_lt_i32 s9, 1
	s_mov_b32 s28, 0
	s_cbranch_scc1 .LBB19_24
; %bb.15:                               ;   in Loop: Header=BB19_10 Depth=1
	s_cmp_eq_u32 s9, 1
	s_mov_b32 s28, -1
	s_cbranch_scc0 .LBB19_23
; %bb.16:                               ;   in Loop: Header=BB19_10 Depth=1
	s_mov_b32 s28, 0
	s_mov_b32 s29, exec_lo
	v_cmpx_le_i32_e64 s16, v4
	s_cbranch_execz .LBB19_22
; %bb.17:                               ;   in Loop: Header=BB19_10 Depth=1
	s_mov_b32 s28, -1
	s_and_saveexec_b32 s1, vcc_lo
	s_xor_b32 s1, exec_lo, s1
	s_cbranch_execz .LBB19_21
; %bb.18:                               ;   in Loop: Header=BB19_10 Depth=1
	s_andn2_b32 vcc_lo, exec_lo, s23
	s_cbranch_vccnz .LBB19_20
; %bb.19:                               ;   in Loop: Header=BB19_10 Depth=1
	v_mul_f32_e32 v5, v3, v3
	v_fmac_f32_e32 v5, v2, v2
	v_div_scale_f32 v6, null, v5, v5, 1.0
	v_div_scale_f32 v13, vcc_lo, 1.0, v5, 1.0
	v_rcp_f32_e32 v7, v6
	v_fma_f32 v12, -v6, v7, 1.0
	v_fmac_f32_e32 v7, v12, v7
	v_mul_f32_e32 v12, v13, v7
	v_fma_f32 v14, -v6, v12, v13
	v_fmac_f32_e32 v12, v14, v7
	v_fma_f32 v6, -v6, v12, v13
	v_div_fmas_f32 v6, v6, v7, v12
	v_fma_f32 v7, 0, v3, v2
	v_fma_f32 v12, v2, 0, -v3
	v_div_fixup_f32 v6, v6, v5, 1.0
	v_mul_f32_e32 v5, v7, v6
	v_mul_f32_e32 v6, v12, v6
	v_mov_b32_e32 v7, s26
	ds_write_b64 v7, v[5:6]
.LBB19_20:                              ;   in Loop: Header=BB19_10 Depth=1
	s_xor_b32 s28, exec_lo, -1
.LBB19_21:                              ;   in Loop: Header=BB19_10 Depth=1
	s_or_b32 exec_lo, exec_lo, s1
	s_and_b32 s28, s28, exec_lo
.LBB19_22:                              ;   in Loop: Header=BB19_10 Depth=1
	s_or_b32 exec_lo, exec_lo, s29
.LBB19_23:                              ;   in Loop: Header=BB19_10 Depth=1
	s_mov_b32 s1, 0
.LBB19_24:                              ;   in Loop: Header=BB19_10 Depth=1
	s_and_b32 vcc_lo, exec_lo, s1
	s_mov_b32 s1, 4
	s_cbranch_vccz .LBB19_31
; %bb.25:                               ;   in Loop: Header=BB19_10 Depth=1
	s_cmp_eq_u32 s9, 0
	s_cbranch_scc1 .LBB19_27
; %bb.26:                               ;   in Loop: Header=BB19_10 Depth=1
	s_mov_b32 s28, -1
	s_branch .LBB19_30
.LBB19_27:                              ;   in Loop: Header=BB19_10 Depth=1
	s_mov_b32 s28, 0
	s_mov_b32 s1, exec_lo
	v_cmpx_ge_i32_e64 s16, v4
; %bb.28:                               ;   in Loop: Header=BB19_10 Depth=1
	s_mov_b32 s27, exec_lo
	s_and_b32 s28, s0, exec_lo
; %bb.29:                               ;   in Loop: Header=BB19_10 Depth=1
	s_or_b32 exec_lo, exec_lo, s1
.LBB19_30:                              ;   in Loop: Header=BB19_10 Depth=1
	s_mov_b32 s1, 2
.LBB19_31:                              ;   in Loop: Header=BB19_10 Depth=1
	v_mov_b32_e32 v5, s1
	v_mov_b32_e32 v7, v10
	;; [unrolled: 1-line block ×3, first 2 shown]
	s_and_saveexec_b32 s0, s28
	s_cbranch_execz .LBB19_36
; %bb.32:                               ;   in Loop: Header=BB19_10 Depth=1
	v_ashrrev_i32_e32 v5, 31, v4
	s_mov_b32 s1, exec_lo
	v_lshlrev_b64 v[6:7], 2, v[4:5]
	v_add_co_u32 v6, vcc_lo, s14, v6
	v_add_co_ci_u32_e64 v7, null, s15, v7, vcc_lo
	global_load_dword v12, v[6:7], off glc dlc
	s_waitcnt vmcnt(0)
	v_cmpx_eq_u32_e32 0, v12
	s_cbranch_execz .LBB19_35
; %bb.33:                               ;   in Loop: Header=BB19_10 Depth=1
	s_mov_b32 s28, 0
.LBB19_34:                              ;   Parent Loop BB19_10 Depth=1
                                        ; =>  This Inner Loop Header: Depth=2
	global_load_dword v12, v[6:7], off glc dlc
	s_waitcnt vmcnt(0)
	v_cmp_ne_u32_e32 vcc_lo, 0, v12
	s_or_b32 s28, vcc_lo, s28
	s_andn2_b32 exec_lo, exec_lo, s28
	s_cbranch_execnz .LBB19_34
.LBB19_35:                              ;   in Loop: Header=BB19_10 Depth=1
	s_or_b32 exec_lo, exec_lo, s1
	v_lshlrev_b64 v[4:5], 3, v[4:5]
	s_waitcnt lgkmcnt(0)
	s_waitcnt_vscnt null, 0x0
	buffer_gl1_inv
	buffer_gl0_inv
	s_andn2_b32 s27, s27, exec_lo
	v_add_co_u32 v4, vcc_lo, s12, v4
	v_add_co_ci_u32_e64 v5, null, s13, v5, vcc_lo
	global_load_dwordx2 v[4:5], v[4:5], off
	s_waitcnt vmcnt(0)
	v_fma_f32 v6, -v2, v4, v9
	v_fma_f32 v4, -v3, v4, v10
	v_fmac_f32_e32 v6, v3, v5
	v_fma_f32 v7, -v2, v5, v4
	v_mov_b32_e32 v5, 0
.LBB19_36:                              ;   in Loop: Header=BB19_10 Depth=1
	s_or_b32 exec_lo, exec_lo, s0
	s_and_saveexec_b32 s0, s27
	s_cbranch_execz .LBB19_40
; %bb.37:                               ;   in Loop: Header=BB19_10 Depth=1
	s_andn2_b32 vcc_lo, exec_lo, s23
	s_cbranch_vccnz .LBB19_39
; %bb.38:                               ;   in Loop: Header=BB19_10 Depth=1
	v_mul_f32_e32 v4, v3, v3
	v_fmac_f32_e32 v4, v2, v2
	v_div_scale_f32 v5, null, v4, v4, 1.0
	v_div_scale_f32 v12, vcc_lo, 1.0, v4, 1.0
	v_rcp_f32_e32 v6, v5
	v_fma_f32 v7, -v5, v6, 1.0
	v_fmac_f32_e32 v6, v7, v6
	v_mul_f32_e32 v7, v12, v6
	v_fma_f32 v13, -v5, v7, v12
	v_fmac_f32_e32 v7, v13, v6
	v_fma_f32 v5, -v5, v7, v12
	v_div_fmas_f32 v5, v5, v6, v7
	v_fma_f32 v6, 0, v3, v2
	v_fma_f32 v3, v2, 0, -v3
	v_div_fixup_f32 v4, v5, v4, 1.0
	v_mul_f32_e32 v2, v6, v4
	v_mul_f32_e32 v3, v3, v4
	v_mov_b32_e32 v4, s26
	ds_write_b64 v4, v[2:3]
.LBB19_39:                              ;   in Loop: Header=BB19_10 Depth=1
	v_mov_b32_e32 v5, 2
	v_mov_b32_e32 v6, v9
	v_mov_b32_e32 v7, v10
.LBB19_40:                              ;   in Loop: Header=BB19_10 Depth=1
	s_or_b32 exec_lo, exec_lo, s0
	v_mov_b32_e32 v10, v7
	v_mov_b32_e32 v9, v6
	s_mov_b32 s0, -1
	s_mov_b32 s27, -1
	s_mov_b32 s1, exec_lo
	v_cmpx_gt_i32_e32 4, v5
; %bb.41:                               ;   in Loop: Header=BB19_10 Depth=1
	v_cmp_eq_u32_e32 vcc_lo, 0, v5
	s_orn2_b32 s27, vcc_lo, exec_lo
; %bb.42:                               ;   in Loop: Header=BB19_10 Depth=1
	s_or_b32 exec_lo, exec_lo, s1
	s_and_saveexec_b32 s1, s27
	s_cbranch_execz .LBB19_9
; %bb.43:                               ;   in Loop: Header=BB19_10 Depth=1
	v_add_co_u32 v0, vcc_lo, v0, 32
	v_add_co_ci_u32_e64 v1, null, 0, v1, vcc_lo
	v_cmp_le_i64_e32 vcc_lo, s[2:3], v[0:1]
	s_orn2_b32 s0, vcc_lo, exec_lo
	s_branch .LBB19_9
.LBB19_44:
	s_or_b32 exec_lo, exec_lo, s24
.LBB19_45:
	s_or_b32 exec_lo, exec_lo, s22
	v_mbcnt_lo_u32_b32 v0, -1, 0
	s_cmp_lg_u32 s10, 0
	v_xor_b32_e32 v1, 16, v0
	v_xor_b32_e32 v3, 8, v0
	;; [unrolled: 1-line block ×3, first 2 shown]
	v_cmp_gt_i32_e32 vcc_lo, 32, v1
	v_cndmask_b32_e32 v1, v0, v1, vcc_lo
	v_cmp_gt_i32_e32 vcc_lo, 32, v3
	v_lshlrev_b32_e32 v1, 2, v1
	v_cndmask_b32_e32 v3, v0, v3, vcc_lo
	v_cmp_gt_i32_e32 vcc_lo, 32, v5
	ds_bpermute_b32 v2, v1, v9
	ds_bpermute_b32 v1, v1, v10
	v_lshlrev_b32_e32 v3, 2, v3
	v_cndmask_b32_e32 v5, v0, v5, vcc_lo
	v_lshlrev_b32_e32 v5, 2, v5
	s_waitcnt lgkmcnt(1)
	v_add_f32_e32 v2, v9, v2
	s_waitcnt lgkmcnt(0)
	v_add_f32_e32 v1, v10, v1
	ds_bpermute_b32 v4, v3, v2
	ds_bpermute_b32 v3, v3, v1
	s_waitcnt lgkmcnt(1)
	v_add_f32_e32 v2, v2, v4
	s_waitcnt lgkmcnt(0)
	v_add_f32_e32 v1, v1, v3
	ds_bpermute_b32 v3, v5, v2
	ds_bpermute_b32 v4, v5, v1
	v_xor_b32_e32 v5, 2, v0
	v_cmp_gt_i32_e32 vcc_lo, 32, v5
	v_cndmask_b32_e32 v5, v0, v5, vcc_lo
	v_lshlrev_b32_e32 v5, 2, v5
	s_waitcnt lgkmcnt(1)
	v_add_f32_e32 v2, v2, v3
	s_waitcnt lgkmcnt(0)
	v_add_f32_e32 v1, v1, v4
	ds_bpermute_b32 v3, v5, v2
	ds_bpermute_b32 v4, v5, v1
	v_xor_b32_e32 v5, 1, v0
	v_cmp_gt_i32_e32 vcc_lo, 32, v5
	v_cndmask_b32_e32 v0, v0, v5, vcc_lo
	v_lshlrev_b32_e32 v0, 2, v0
	s_waitcnt lgkmcnt(1)
	v_add_f32_e32 v2, v2, v3
	s_waitcnt lgkmcnt(0)
	v_add_f32_e32 v1, v1, v4
	ds_bpermute_b32 v3, v0, v2
	ds_bpermute_b32 v4, v0, v1
	s_waitcnt lgkmcnt(1)
	v_add_f32_e32 v0, v2, v3
	s_waitcnt lgkmcnt(0)
	v_add_f32_e32 v1, v1, v4
	s_cbranch_scc1 .LBB19_47
; %bb.46:
	s_lshl_b32 s0, s11, 3
	s_waitcnt_vscnt null, 0x0
	buffer_gl0_inv
	v_mov_b32_e32 v2, s0
	ds_read_b64 v[2:3], v2
	s_waitcnt lgkmcnt(0)
	v_mul_f32_e64 v4, v3, -v1
	v_mul_f32_e32 v3, v0, v3
	v_fmac_f32_e32 v4, v0, v2
	v_fmac_f32_e32 v3, v1, v2
	v_mov_b32_e32 v0, v4
	v_mov_b32_e32 v1, v3
.LBB19_47:
	s_mov_b32 s0, exec_lo
	v_cmpx_eq_u32_e32 31, v8
	s_cbranch_execz .LBB19_49
; %bb.48:
	s_add_u32 s0, s12, s18
	v_mov_b32_e32 v2, 0
	s_addc_u32 s1, s13, s19
	s_lshl_b64 s[2:3], s[16:17], 2
	v_mov_b32_e32 v3, 1
	s_add_u32 s2, s14, s2
	s_addc_u32 s3, s15, s3
	global_store_dwordx2 v2, v[0:1], s[0:1] glc slc
	s_waitcnt_vscnt null, 0x0
	global_store_dword v2, v3, s[2:3]
.LBB19_49:
	s_endpgm
	.section	.rodata,"a",@progbits
	.p2align	6, 0x0
	.amdhsa_kernel _ZN9rocsparseL12csrsv_kernelILj1024ELj32ELb0Eli21rocsparse_complex_numIfEEEvT3_NS_24const_host_device_scalarIT4_EEPKT2_PKS3_PKS5_SD_lPS5_PiSB_iPS3_21rocsparse_index_base_20rocsparse_fill_mode_20rocsparse_diag_type_b
		.amdhsa_group_segment_fixed_size 256
		.amdhsa_private_segment_fixed_size 0
		.amdhsa_kernarg_size 112
		.amdhsa_user_sgpr_count 6
		.amdhsa_user_sgpr_private_segment_buffer 1
		.amdhsa_user_sgpr_dispatch_ptr 0
		.amdhsa_user_sgpr_queue_ptr 0
		.amdhsa_user_sgpr_kernarg_segment_ptr 1
		.amdhsa_user_sgpr_dispatch_id 0
		.amdhsa_user_sgpr_flat_scratch_init 0
		.amdhsa_user_sgpr_private_segment_size 0
		.amdhsa_wavefront_size32 1
		.amdhsa_uses_dynamic_stack 0
		.amdhsa_system_sgpr_private_segment_wavefront_offset 0
		.amdhsa_system_sgpr_workgroup_id_x 1
		.amdhsa_system_sgpr_workgroup_id_y 0
		.amdhsa_system_sgpr_workgroup_id_z 0
		.amdhsa_system_sgpr_workgroup_info 0
		.amdhsa_system_vgpr_workitem_id 0
		.amdhsa_next_free_vgpr 15
		.amdhsa_next_free_sgpr 30
		.amdhsa_reserve_vcc 1
		.amdhsa_reserve_flat_scratch 0
		.amdhsa_float_round_mode_32 0
		.amdhsa_float_round_mode_16_64 0
		.amdhsa_float_denorm_mode_32 3
		.amdhsa_float_denorm_mode_16_64 3
		.amdhsa_dx10_clamp 1
		.amdhsa_ieee_mode 1
		.amdhsa_fp16_overflow 0
		.amdhsa_workgroup_processor_mode 1
		.amdhsa_memory_ordered 1
		.amdhsa_forward_progress 1
		.amdhsa_shared_vgpr_count 0
		.amdhsa_exception_fp_ieee_invalid_op 0
		.amdhsa_exception_fp_denorm_src 0
		.amdhsa_exception_fp_ieee_div_zero 0
		.amdhsa_exception_fp_ieee_overflow 0
		.amdhsa_exception_fp_ieee_underflow 0
		.amdhsa_exception_fp_ieee_inexact 0
		.amdhsa_exception_int_div_zero 0
	.end_amdhsa_kernel
	.section	.text._ZN9rocsparseL12csrsv_kernelILj1024ELj32ELb0Eli21rocsparse_complex_numIfEEEvT3_NS_24const_host_device_scalarIT4_EEPKT2_PKS3_PKS5_SD_lPS5_PiSB_iPS3_21rocsparse_index_base_20rocsparse_fill_mode_20rocsparse_diag_type_b,"axG",@progbits,_ZN9rocsparseL12csrsv_kernelILj1024ELj32ELb0Eli21rocsparse_complex_numIfEEEvT3_NS_24const_host_device_scalarIT4_EEPKT2_PKS3_PKS5_SD_lPS5_PiSB_iPS3_21rocsparse_index_base_20rocsparse_fill_mode_20rocsparse_diag_type_b,comdat
.Lfunc_end19:
	.size	_ZN9rocsparseL12csrsv_kernelILj1024ELj32ELb0Eli21rocsparse_complex_numIfEEEvT3_NS_24const_host_device_scalarIT4_EEPKT2_PKS3_PKS5_SD_lPS5_PiSB_iPS3_21rocsparse_index_base_20rocsparse_fill_mode_20rocsparse_diag_type_b, .Lfunc_end19-_ZN9rocsparseL12csrsv_kernelILj1024ELj32ELb0Eli21rocsparse_complex_numIfEEEvT3_NS_24const_host_device_scalarIT4_EEPKT2_PKS3_PKS5_SD_lPS5_PiSB_iPS3_21rocsparse_index_base_20rocsparse_fill_mode_20rocsparse_diag_type_b
                                        ; -- End function
	.set _ZN9rocsparseL12csrsv_kernelILj1024ELj32ELb0Eli21rocsparse_complex_numIfEEEvT3_NS_24const_host_device_scalarIT4_EEPKT2_PKS3_PKS5_SD_lPS5_PiSB_iPS3_21rocsparse_index_base_20rocsparse_fill_mode_20rocsparse_diag_type_b.num_vgpr, 15
	.set _ZN9rocsparseL12csrsv_kernelILj1024ELj32ELb0Eli21rocsparse_complex_numIfEEEvT3_NS_24const_host_device_scalarIT4_EEPKT2_PKS3_PKS5_SD_lPS5_PiSB_iPS3_21rocsparse_index_base_20rocsparse_fill_mode_20rocsparse_diag_type_b.num_agpr, 0
	.set _ZN9rocsparseL12csrsv_kernelILj1024ELj32ELb0Eli21rocsparse_complex_numIfEEEvT3_NS_24const_host_device_scalarIT4_EEPKT2_PKS3_PKS5_SD_lPS5_PiSB_iPS3_21rocsparse_index_base_20rocsparse_fill_mode_20rocsparse_diag_type_b.numbered_sgpr, 30
	.set _ZN9rocsparseL12csrsv_kernelILj1024ELj32ELb0Eli21rocsparse_complex_numIfEEEvT3_NS_24const_host_device_scalarIT4_EEPKT2_PKS3_PKS5_SD_lPS5_PiSB_iPS3_21rocsparse_index_base_20rocsparse_fill_mode_20rocsparse_diag_type_b.num_named_barrier, 0
	.set _ZN9rocsparseL12csrsv_kernelILj1024ELj32ELb0Eli21rocsparse_complex_numIfEEEvT3_NS_24const_host_device_scalarIT4_EEPKT2_PKS3_PKS5_SD_lPS5_PiSB_iPS3_21rocsparse_index_base_20rocsparse_fill_mode_20rocsparse_diag_type_b.private_seg_size, 0
	.set _ZN9rocsparseL12csrsv_kernelILj1024ELj32ELb0Eli21rocsparse_complex_numIfEEEvT3_NS_24const_host_device_scalarIT4_EEPKT2_PKS3_PKS5_SD_lPS5_PiSB_iPS3_21rocsparse_index_base_20rocsparse_fill_mode_20rocsparse_diag_type_b.uses_vcc, 1
	.set _ZN9rocsparseL12csrsv_kernelILj1024ELj32ELb0Eli21rocsparse_complex_numIfEEEvT3_NS_24const_host_device_scalarIT4_EEPKT2_PKS3_PKS5_SD_lPS5_PiSB_iPS3_21rocsparse_index_base_20rocsparse_fill_mode_20rocsparse_diag_type_b.uses_flat_scratch, 0
	.set _ZN9rocsparseL12csrsv_kernelILj1024ELj32ELb0Eli21rocsparse_complex_numIfEEEvT3_NS_24const_host_device_scalarIT4_EEPKT2_PKS3_PKS5_SD_lPS5_PiSB_iPS3_21rocsparse_index_base_20rocsparse_fill_mode_20rocsparse_diag_type_b.has_dyn_sized_stack, 0
	.set _ZN9rocsparseL12csrsv_kernelILj1024ELj32ELb0Eli21rocsparse_complex_numIfEEEvT3_NS_24const_host_device_scalarIT4_EEPKT2_PKS3_PKS5_SD_lPS5_PiSB_iPS3_21rocsparse_index_base_20rocsparse_fill_mode_20rocsparse_diag_type_b.has_recursion, 0
	.set _ZN9rocsparseL12csrsv_kernelILj1024ELj32ELb0Eli21rocsparse_complex_numIfEEEvT3_NS_24const_host_device_scalarIT4_EEPKT2_PKS3_PKS5_SD_lPS5_PiSB_iPS3_21rocsparse_index_base_20rocsparse_fill_mode_20rocsparse_diag_type_b.has_indirect_call, 0
	.section	.AMDGPU.csdata,"",@progbits
; Kernel info:
; codeLenInByte = 1716
; TotalNumSgprs: 32
; NumVgprs: 15
; ScratchSize: 0
; MemoryBound: 0
; FloatMode: 240
; IeeeMode: 1
; LDSByteSize: 256 bytes/workgroup (compile time only)
; SGPRBlocks: 0
; VGPRBlocks: 1
; NumSGPRsForWavesPerEU: 32
; NumVGPRsForWavesPerEU: 15
; Occupancy: 16
; WaveLimiterHint : 1
; COMPUTE_PGM_RSRC2:SCRATCH_EN: 0
; COMPUTE_PGM_RSRC2:USER_SGPR: 6
; COMPUTE_PGM_RSRC2:TRAP_HANDLER: 0
; COMPUTE_PGM_RSRC2:TGID_X_EN: 1
; COMPUTE_PGM_RSRC2:TGID_Y_EN: 0
; COMPUTE_PGM_RSRC2:TGID_Z_EN: 0
; COMPUTE_PGM_RSRC2:TIDIG_COMP_CNT: 0
	.section	.text._ZN9rocsparseL12csrsv_kernelILj1024ELj64ELb0Eli21rocsparse_complex_numIfEEEvT3_NS_24const_host_device_scalarIT4_EEPKT2_PKS3_PKS5_SD_lPS5_PiSB_iPS3_21rocsparse_index_base_20rocsparse_fill_mode_20rocsparse_diag_type_b,"axG",@progbits,_ZN9rocsparseL12csrsv_kernelILj1024ELj64ELb0Eli21rocsparse_complex_numIfEEEvT3_NS_24const_host_device_scalarIT4_EEPKT2_PKS3_PKS5_SD_lPS5_PiSB_iPS3_21rocsparse_index_base_20rocsparse_fill_mode_20rocsparse_diag_type_b,comdat
	.globl	_ZN9rocsparseL12csrsv_kernelILj1024ELj64ELb0Eli21rocsparse_complex_numIfEEEvT3_NS_24const_host_device_scalarIT4_EEPKT2_PKS3_PKS5_SD_lPS5_PiSB_iPS3_21rocsparse_index_base_20rocsparse_fill_mode_20rocsparse_diag_type_b ; -- Begin function _ZN9rocsparseL12csrsv_kernelILj1024ELj64ELb0Eli21rocsparse_complex_numIfEEEvT3_NS_24const_host_device_scalarIT4_EEPKT2_PKS3_PKS5_SD_lPS5_PiSB_iPS3_21rocsparse_index_base_20rocsparse_fill_mode_20rocsparse_diag_type_b
	.p2align	8
	.type	_ZN9rocsparseL12csrsv_kernelILj1024ELj64ELb0Eli21rocsparse_complex_numIfEEEvT3_NS_24const_host_device_scalarIT4_EEPKT2_PKS3_PKS5_SD_lPS5_PiSB_iPS3_21rocsparse_index_base_20rocsparse_fill_mode_20rocsparse_diag_type_b,@function
_ZN9rocsparseL12csrsv_kernelILj1024ELj64ELb0Eli21rocsparse_complex_numIfEEEvT3_NS_24const_host_device_scalarIT4_EEPKT2_PKS3_PKS5_SD_lPS5_PiSB_iPS3_21rocsparse_index_base_20rocsparse_fill_mode_20rocsparse_diag_type_b: ; @_ZN9rocsparseL12csrsv_kernelILj1024ELj64ELb0Eli21rocsparse_complex_numIfEEEvT3_NS_24const_host_device_scalarIT4_EEPKT2_PKS3_PKS5_SD_lPS5_PiSB_iPS3_21rocsparse_index_base_20rocsparse_fill_mode_20rocsparse_diag_type_b
; %bb.0:
	s_clause 0x1
	s_load_dwordx4 s[8:11], s[4:5], 0x60
	s_load_dwordx2 s[20:21], s[4:5], 0x8
	s_waitcnt lgkmcnt(0)
	s_bitcmp1_b32 s11, 0
	s_mov_b32 s7, s20
	s_cselect_b32 s1, -1, 0
	s_xor_b32 s0, s1, -1
	s_and_b32 vcc_lo, exec_lo, s1
	s_cbranch_vccnz .LBB20_2
; %bb.1:
	s_load_dword s7, s[20:21], 0x0
.LBB20_2:
	s_andn2_b32 vcc_lo, exec_lo, s0
	s_cbranch_vccnz .LBB20_4
; %bb.3:
	s_load_dword s21, s[20:21], 0x4
.LBB20_4:
	s_load_dword s1, s[4:5], 0x0
	v_readfirstlane_b32 s0, v0
	s_lshr_b32 s11, s0, 6
	s_lshl_b32 s0, s6, 4
	s_add_i32 s0, s11, s0
	s_waitcnt lgkmcnt(0)
	s_cmp_ge_i32 s0, s1
	s_cbranch_scc1 .LBB20_49
; %bb.5:
	s_clause 0x2
	s_load_dword s1, s[4:5], 0x50
	s_load_dwordx2 s[2:3], s[4:5], 0x48
	s_load_dwordx4 s[12:15], s[4:5], 0x38
	v_and_b32_e32 v8, 63, v0
	v_mov_b32_e32 v9, 0
	v_mov_b32_e32 v10, 0
	s_mov_b32 s6, exec_lo
	s_waitcnt lgkmcnt(0)
	s_add_i32 s0, s0, s1
	s_ashr_i32 s1, s0, 31
	s_lshl_b64 s[0:1], s[0:1], 2
	s_add_u32 s0, s2, s0
	s_addc_u32 s1, s3, s1
	s_load_dword s16, s[0:1], 0x0
	s_load_dwordx2 s[0:1], s[4:5], 0x10
	s_waitcnt lgkmcnt(0)
	s_ashr_i32 s17, s16, 31
	s_lshl_b64 s[18:19], s[16:17], 3
	s_add_u32 s0, s0, s18
	s_addc_u32 s1, s1, s19
	s_load_dwordx4 s[0:3], s[0:1], 0x0
	v_cmpx_eq_u32_e32 0, v8
	s_cbranch_execz .LBB20_7
; %bb.6:
	s_load_dwordx4 s[24:27], s[4:5], 0x28
	s_waitcnt lgkmcnt(0)
	s_mul_i32 s20, s26, s17
	s_mul_hi_u32 s22, s26, s16
	s_mul_i32 s23, s27, s16
	s_add_i32 s20, s22, s20
	s_mul_i32 s22, s26, s16
	s_add_i32 s23, s20, s23
	s_lshl_b64 s[22:23], s[22:23], 3
	s_add_u32 s22, s24, s22
	s_addc_u32 s23, s25, s23
	s_load_dwordx2 s[22:23], s[22:23], 0x0
	s_waitcnt lgkmcnt(0)
	v_mul_f32_e64 v9, s23, -s21
	v_mul_f32_e64 v10, s23, s7
	v_fmac_f32_e64 v9, s7, s22
	v_fmac_f32_e64 v10, s21, s22
.LBB20_7:
	s_or_b32 exec_lo, exec_lo, s6
	v_sub_co_u32 v0, s6, v8, s8
	v_sub_co_ci_u32_e64 v1, null, 0, 0, s6
	s_waitcnt lgkmcnt(0)
	s_sub_u32 s2, s2, s8
	v_add_co_u32 v0, vcc_lo, s0, v0
	v_add_co_ci_u32_e64 v1, null, s1, v1, vcc_lo
	s_subb_u32 s3, s3, 0
	s_mov_b32 s22, exec_lo
	v_cmpx_gt_i64_e64 s[2:3], v[0:1]
	s_cbranch_execz .LBB20_45
; %bb.8:
	s_clause 0x1
	s_load_dwordx2 s[20:21], s[4:5], 0x58
	s_load_dwordx4 s[4:7], s[4:5], 0x18
	v_mov_b32_e32 v11, 0
	s_cmp_eq_u32 s10, 0
	s_mov_b32 s24, 0
	s_cselect_b32 s23, -1, 0
	s_add_i32 s25, s16, s8
	s_lshl_b32 s26, s11, 3
	s_branch .LBB20_10
.LBB20_9:                               ;   in Loop: Header=BB20_10 Depth=1
	s_or_b32 exec_lo, exec_lo, s1
	s_and_b32 s0, exec_lo, s0
	s_or_b32 s24, s0, s24
	s_andn2_b32 exec_lo, exec_lo, s24
	s_cbranch_execz .LBB20_44
.LBB20_10:                              ; =>This Loop Header: Depth=1
                                        ;     Child Loop BB20_34 Depth 2
	v_lshlrev_b64 v[2:3], 2, v[0:1]
	v_lshlrev_b64 v[4:5], 3, v[0:1]
	s_waitcnt lgkmcnt(0)
	v_add_co_u32 v2, vcc_lo, s4, v2
	v_add_co_ci_u32_e64 v3, null, s5, v3, vcc_lo
	v_add_co_u32 v4, vcc_lo, s6, v4
	v_add_co_ci_u32_e64 v5, null, s7, v5, vcc_lo
	global_load_dword v6, v[2:3], off slc
	global_load_dwordx2 v[2:3], v[4:5], off slc
	s_waitcnt vmcnt(1)
	v_subrev_nc_u32_e32 v4, s8, v6
	s_waitcnt vmcnt(0)
	v_cmp_eq_f32_e64 s0, 0, v2
	v_cmp_eq_f32_e64 s1, 0, v3
	v_cmp_eq_u32_e32 vcc_lo, s16, v4
	s_and_b32 s1, s0, s1
	v_cmp_ne_u32_e64 s0, s16, v4
	s_and_b32 s1, s1, vcc_lo
	s_and_b32 s1, s23, s1
	s_and_saveexec_b32 s27, s1
	s_cbranch_execz .LBB20_14
; %bb.11:                               ;   in Loop: Header=BB20_10 Depth=1
	v_mbcnt_lo_u32_b32 v2, exec_lo, 0
	s_mov_b32 s28, exec_lo
	v_cmpx_eq_u32_e32 0, v2
	s_cbranch_execz .LBB20_13
; %bb.12:                               ;   in Loop: Header=BB20_10 Depth=1
	v_mov_b32_e32 v2, s25
	global_atomic_smin v11, v2, s[20:21]
.LBB20_13:                              ;   in Loop: Header=BB20_10 Depth=1
	s_or_b32 exec_lo, exec_lo, s28
	v_mov_b32_e32 v3, 0
	v_mov_b32_e32 v2, 1.0
.LBB20_14:                              ;   in Loop: Header=BB20_10 Depth=1
	s_or_b32 exec_lo, exec_lo, s27
	s_mov_b32 s1, -1
	s_mov_b32 s27, 0
	s_cmp_lt_i32 s9, 1
	s_mov_b32 s28, 0
	s_cbranch_scc1 .LBB20_24
; %bb.15:                               ;   in Loop: Header=BB20_10 Depth=1
	s_cmp_eq_u32 s9, 1
	s_mov_b32 s28, -1
	s_cbranch_scc0 .LBB20_23
; %bb.16:                               ;   in Loop: Header=BB20_10 Depth=1
	s_mov_b32 s28, 0
	s_mov_b32 s29, exec_lo
	v_cmpx_le_i32_e64 s16, v4
	s_cbranch_execz .LBB20_22
; %bb.17:                               ;   in Loop: Header=BB20_10 Depth=1
	s_mov_b32 s28, -1
	s_and_saveexec_b32 s1, vcc_lo
	s_xor_b32 s1, exec_lo, s1
	s_cbranch_execz .LBB20_21
; %bb.18:                               ;   in Loop: Header=BB20_10 Depth=1
	s_andn2_b32 vcc_lo, exec_lo, s23
	s_cbranch_vccnz .LBB20_20
; %bb.19:                               ;   in Loop: Header=BB20_10 Depth=1
	v_mul_f32_e32 v5, v3, v3
	v_fmac_f32_e32 v5, v2, v2
	v_div_scale_f32 v6, null, v5, v5, 1.0
	v_div_scale_f32 v13, vcc_lo, 1.0, v5, 1.0
	v_rcp_f32_e32 v7, v6
	v_fma_f32 v12, -v6, v7, 1.0
	v_fmac_f32_e32 v7, v12, v7
	v_mul_f32_e32 v12, v13, v7
	v_fma_f32 v14, -v6, v12, v13
	v_fmac_f32_e32 v12, v14, v7
	v_fma_f32 v6, -v6, v12, v13
	v_div_fmas_f32 v6, v6, v7, v12
	v_fma_f32 v7, 0, v3, v2
	v_fma_f32 v12, v2, 0, -v3
	v_div_fixup_f32 v6, v6, v5, 1.0
	v_mul_f32_e32 v5, v7, v6
	v_mul_f32_e32 v6, v12, v6
	v_mov_b32_e32 v7, s26
	ds_write_b64 v7, v[5:6]
.LBB20_20:                              ;   in Loop: Header=BB20_10 Depth=1
	s_xor_b32 s28, exec_lo, -1
.LBB20_21:                              ;   in Loop: Header=BB20_10 Depth=1
	s_or_b32 exec_lo, exec_lo, s1
	s_and_b32 s28, s28, exec_lo
.LBB20_22:                              ;   in Loop: Header=BB20_10 Depth=1
	s_or_b32 exec_lo, exec_lo, s29
.LBB20_23:                              ;   in Loop: Header=BB20_10 Depth=1
	s_mov_b32 s1, 0
.LBB20_24:                              ;   in Loop: Header=BB20_10 Depth=1
	s_and_b32 vcc_lo, exec_lo, s1
	s_mov_b32 s1, 4
	s_cbranch_vccz .LBB20_31
; %bb.25:                               ;   in Loop: Header=BB20_10 Depth=1
	s_cmp_eq_u32 s9, 0
	s_cbranch_scc1 .LBB20_27
; %bb.26:                               ;   in Loop: Header=BB20_10 Depth=1
	s_mov_b32 s28, -1
	s_branch .LBB20_30
.LBB20_27:                              ;   in Loop: Header=BB20_10 Depth=1
	s_mov_b32 s28, 0
	s_mov_b32 s1, exec_lo
	v_cmpx_ge_i32_e64 s16, v4
; %bb.28:                               ;   in Loop: Header=BB20_10 Depth=1
	s_mov_b32 s27, exec_lo
	s_and_b32 s28, s0, exec_lo
; %bb.29:                               ;   in Loop: Header=BB20_10 Depth=1
	s_or_b32 exec_lo, exec_lo, s1
.LBB20_30:                              ;   in Loop: Header=BB20_10 Depth=1
	s_mov_b32 s1, 2
.LBB20_31:                              ;   in Loop: Header=BB20_10 Depth=1
	v_mov_b32_e32 v5, s1
	v_mov_b32_e32 v7, v10
	;; [unrolled: 1-line block ×3, first 2 shown]
	s_and_saveexec_b32 s0, s28
	s_cbranch_execz .LBB20_36
; %bb.32:                               ;   in Loop: Header=BB20_10 Depth=1
	v_ashrrev_i32_e32 v5, 31, v4
	s_mov_b32 s1, exec_lo
	v_lshlrev_b64 v[6:7], 2, v[4:5]
	v_add_co_u32 v6, vcc_lo, s14, v6
	v_add_co_ci_u32_e64 v7, null, s15, v7, vcc_lo
	global_load_dword v12, v[6:7], off glc dlc
	s_waitcnt vmcnt(0)
	v_cmpx_eq_u32_e32 0, v12
	s_cbranch_execz .LBB20_35
; %bb.33:                               ;   in Loop: Header=BB20_10 Depth=1
	s_mov_b32 s28, 0
.LBB20_34:                              ;   Parent Loop BB20_10 Depth=1
                                        ; =>  This Inner Loop Header: Depth=2
	global_load_dword v12, v[6:7], off glc dlc
	s_waitcnt vmcnt(0)
	v_cmp_ne_u32_e32 vcc_lo, 0, v12
	s_or_b32 s28, vcc_lo, s28
	s_andn2_b32 exec_lo, exec_lo, s28
	s_cbranch_execnz .LBB20_34
.LBB20_35:                              ;   in Loop: Header=BB20_10 Depth=1
	s_or_b32 exec_lo, exec_lo, s1
	v_lshlrev_b64 v[4:5], 3, v[4:5]
	s_waitcnt lgkmcnt(0)
	s_waitcnt_vscnt null, 0x0
	buffer_gl1_inv
	buffer_gl0_inv
	s_andn2_b32 s27, s27, exec_lo
	v_add_co_u32 v4, vcc_lo, s12, v4
	v_add_co_ci_u32_e64 v5, null, s13, v5, vcc_lo
	global_load_dwordx2 v[4:5], v[4:5], off
	s_waitcnt vmcnt(0)
	v_fma_f32 v6, -v2, v4, v9
	v_fma_f32 v4, -v3, v4, v10
	v_fmac_f32_e32 v6, v3, v5
	v_fma_f32 v7, -v2, v5, v4
	v_mov_b32_e32 v5, 0
.LBB20_36:                              ;   in Loop: Header=BB20_10 Depth=1
	s_or_b32 exec_lo, exec_lo, s0
	s_and_saveexec_b32 s0, s27
	s_cbranch_execz .LBB20_40
; %bb.37:                               ;   in Loop: Header=BB20_10 Depth=1
	s_andn2_b32 vcc_lo, exec_lo, s23
	s_cbranch_vccnz .LBB20_39
; %bb.38:                               ;   in Loop: Header=BB20_10 Depth=1
	v_mul_f32_e32 v4, v3, v3
	v_fmac_f32_e32 v4, v2, v2
	v_div_scale_f32 v5, null, v4, v4, 1.0
	v_div_scale_f32 v12, vcc_lo, 1.0, v4, 1.0
	v_rcp_f32_e32 v6, v5
	v_fma_f32 v7, -v5, v6, 1.0
	v_fmac_f32_e32 v6, v7, v6
	v_mul_f32_e32 v7, v12, v6
	v_fma_f32 v13, -v5, v7, v12
	v_fmac_f32_e32 v7, v13, v6
	v_fma_f32 v5, -v5, v7, v12
	v_div_fmas_f32 v5, v5, v6, v7
	v_fma_f32 v6, 0, v3, v2
	v_fma_f32 v3, v2, 0, -v3
	v_div_fixup_f32 v4, v5, v4, 1.0
	v_mul_f32_e32 v2, v6, v4
	v_mul_f32_e32 v3, v3, v4
	v_mov_b32_e32 v4, s26
	ds_write_b64 v4, v[2:3]
.LBB20_39:                              ;   in Loop: Header=BB20_10 Depth=1
	v_mov_b32_e32 v5, 2
	v_mov_b32_e32 v6, v9
	;; [unrolled: 1-line block ×3, first 2 shown]
.LBB20_40:                              ;   in Loop: Header=BB20_10 Depth=1
	s_or_b32 exec_lo, exec_lo, s0
	v_mov_b32_e32 v10, v7
	v_mov_b32_e32 v9, v6
	s_mov_b32 s0, -1
	s_mov_b32 s27, -1
	s_mov_b32 s1, exec_lo
	v_cmpx_gt_i32_e32 4, v5
; %bb.41:                               ;   in Loop: Header=BB20_10 Depth=1
	v_cmp_eq_u32_e32 vcc_lo, 0, v5
	s_orn2_b32 s27, vcc_lo, exec_lo
; %bb.42:                               ;   in Loop: Header=BB20_10 Depth=1
	s_or_b32 exec_lo, exec_lo, s1
	s_and_saveexec_b32 s1, s27
	s_cbranch_execz .LBB20_9
; %bb.43:                               ;   in Loop: Header=BB20_10 Depth=1
	v_add_co_u32 v0, vcc_lo, v0, 64
	v_add_co_ci_u32_e64 v1, null, 0, v1, vcc_lo
	v_cmp_le_i64_e32 vcc_lo, s[2:3], v[0:1]
	s_orn2_b32 s0, vcc_lo, exec_lo
	s_branch .LBB20_9
.LBB20_44:
	s_or_b32 exec_lo, exec_lo, s24
.LBB20_45:
	s_or_b32 exec_lo, exec_lo, s22
	v_mbcnt_lo_u32_b32 v0, -1, 0
	s_cmp_lg_u32 s10, 0
	v_or_b32_e32 v1, 32, v0
	v_xor_b32_e32 v3, 16, v0
	v_xor_b32_e32 v5, 8, v0
	v_cmp_gt_i32_e32 vcc_lo, 32, v1
	v_cndmask_b32_e32 v1, v0, v1, vcc_lo
	v_cmp_gt_i32_e32 vcc_lo, 32, v3
	v_lshlrev_b32_e32 v1, 2, v1
	v_cndmask_b32_e32 v3, v0, v3, vcc_lo
	v_cmp_gt_i32_e32 vcc_lo, 32, v5
	ds_bpermute_b32 v2, v1, v9
	ds_bpermute_b32 v1, v1, v10
	v_lshlrev_b32_e32 v3, 2, v3
	v_cndmask_b32_e32 v5, v0, v5, vcc_lo
	v_lshlrev_b32_e32 v5, 2, v5
	s_waitcnt lgkmcnt(1)
	v_add_f32_e32 v2, v9, v2
	s_waitcnt lgkmcnt(0)
	v_add_f32_e32 v1, v10, v1
	ds_bpermute_b32 v4, v3, v2
	ds_bpermute_b32 v3, v3, v1
	s_waitcnt lgkmcnt(1)
	v_add_f32_e32 v2, v2, v4
	s_waitcnt lgkmcnt(0)
	v_add_f32_e32 v1, v1, v3
	ds_bpermute_b32 v3, v5, v2
	ds_bpermute_b32 v4, v5, v1
	v_xor_b32_e32 v5, 4, v0
	v_cmp_gt_i32_e32 vcc_lo, 32, v5
	v_cndmask_b32_e32 v5, v0, v5, vcc_lo
	v_lshlrev_b32_e32 v5, 2, v5
	s_waitcnt lgkmcnt(1)
	v_add_f32_e32 v2, v2, v3
	s_waitcnt lgkmcnt(0)
	v_add_f32_e32 v1, v1, v4
	ds_bpermute_b32 v3, v5, v2
	ds_bpermute_b32 v4, v5, v1
	v_xor_b32_e32 v5, 2, v0
	v_cmp_gt_i32_e32 vcc_lo, 32, v5
	v_cndmask_b32_e32 v5, v0, v5, vcc_lo
	v_lshlrev_b32_e32 v5, 2, v5
	;; [unrolled: 10-line block ×3, first 2 shown]
	s_waitcnt lgkmcnt(1)
	v_add_f32_e32 v2, v2, v3
	s_waitcnt lgkmcnt(0)
	v_add_f32_e32 v1, v1, v4
	ds_bpermute_b32 v3, v0, v2
	ds_bpermute_b32 v4, v0, v1
	s_waitcnt lgkmcnt(1)
	v_add_f32_e32 v0, v2, v3
	s_waitcnt lgkmcnt(0)
	v_add_f32_e32 v1, v1, v4
	s_cbranch_scc1 .LBB20_47
; %bb.46:
	s_lshl_b32 s0, s11, 3
	s_waitcnt_vscnt null, 0x0
	buffer_gl0_inv
	v_mov_b32_e32 v2, s0
	ds_read_b64 v[2:3], v2
	s_waitcnt lgkmcnt(0)
	v_mul_f32_e64 v4, v3, -v1
	v_mul_f32_e32 v3, v0, v3
	v_fmac_f32_e32 v4, v0, v2
	v_fmac_f32_e32 v3, v1, v2
	v_mov_b32_e32 v0, v4
	v_mov_b32_e32 v1, v3
.LBB20_47:
	s_mov_b32 s0, exec_lo
	v_cmpx_eq_u32_e32 63, v8
	s_cbranch_execz .LBB20_49
; %bb.48:
	s_add_u32 s0, s12, s18
	v_mov_b32_e32 v2, 0
	s_addc_u32 s1, s13, s19
	s_lshl_b64 s[2:3], s[16:17], 2
	v_mov_b32_e32 v3, 1
	s_add_u32 s2, s14, s2
	s_addc_u32 s3, s15, s3
	global_store_dwordx2 v2, v[0:1], s[0:1] glc slc
	s_waitcnt_vscnt null, 0x0
	global_store_dword v2, v3, s[2:3]
.LBB20_49:
	s_endpgm
	.section	.rodata,"a",@progbits
	.p2align	6, 0x0
	.amdhsa_kernel _ZN9rocsparseL12csrsv_kernelILj1024ELj64ELb0Eli21rocsparse_complex_numIfEEEvT3_NS_24const_host_device_scalarIT4_EEPKT2_PKS3_PKS5_SD_lPS5_PiSB_iPS3_21rocsparse_index_base_20rocsparse_fill_mode_20rocsparse_diag_type_b
		.amdhsa_group_segment_fixed_size 128
		.amdhsa_private_segment_fixed_size 0
		.amdhsa_kernarg_size 112
		.amdhsa_user_sgpr_count 6
		.amdhsa_user_sgpr_private_segment_buffer 1
		.amdhsa_user_sgpr_dispatch_ptr 0
		.amdhsa_user_sgpr_queue_ptr 0
		.amdhsa_user_sgpr_kernarg_segment_ptr 1
		.amdhsa_user_sgpr_dispatch_id 0
		.amdhsa_user_sgpr_flat_scratch_init 0
		.amdhsa_user_sgpr_private_segment_size 0
		.amdhsa_wavefront_size32 1
		.amdhsa_uses_dynamic_stack 0
		.amdhsa_system_sgpr_private_segment_wavefront_offset 0
		.amdhsa_system_sgpr_workgroup_id_x 1
		.amdhsa_system_sgpr_workgroup_id_y 0
		.amdhsa_system_sgpr_workgroup_id_z 0
		.amdhsa_system_sgpr_workgroup_info 0
		.amdhsa_system_vgpr_workitem_id 0
		.amdhsa_next_free_vgpr 15
		.amdhsa_next_free_sgpr 30
		.amdhsa_reserve_vcc 1
		.amdhsa_reserve_flat_scratch 0
		.amdhsa_float_round_mode_32 0
		.amdhsa_float_round_mode_16_64 0
		.amdhsa_float_denorm_mode_32 3
		.amdhsa_float_denorm_mode_16_64 3
		.amdhsa_dx10_clamp 1
		.amdhsa_ieee_mode 1
		.amdhsa_fp16_overflow 0
		.amdhsa_workgroup_processor_mode 1
		.amdhsa_memory_ordered 1
		.amdhsa_forward_progress 1
		.amdhsa_shared_vgpr_count 0
		.amdhsa_exception_fp_ieee_invalid_op 0
		.amdhsa_exception_fp_denorm_src 0
		.amdhsa_exception_fp_ieee_div_zero 0
		.amdhsa_exception_fp_ieee_overflow 0
		.amdhsa_exception_fp_ieee_underflow 0
		.amdhsa_exception_fp_ieee_inexact 0
		.amdhsa_exception_int_div_zero 0
	.end_amdhsa_kernel
	.section	.text._ZN9rocsparseL12csrsv_kernelILj1024ELj64ELb0Eli21rocsparse_complex_numIfEEEvT3_NS_24const_host_device_scalarIT4_EEPKT2_PKS3_PKS5_SD_lPS5_PiSB_iPS3_21rocsparse_index_base_20rocsparse_fill_mode_20rocsparse_diag_type_b,"axG",@progbits,_ZN9rocsparseL12csrsv_kernelILj1024ELj64ELb0Eli21rocsparse_complex_numIfEEEvT3_NS_24const_host_device_scalarIT4_EEPKT2_PKS3_PKS5_SD_lPS5_PiSB_iPS3_21rocsparse_index_base_20rocsparse_fill_mode_20rocsparse_diag_type_b,comdat
.Lfunc_end20:
	.size	_ZN9rocsparseL12csrsv_kernelILj1024ELj64ELb0Eli21rocsparse_complex_numIfEEEvT3_NS_24const_host_device_scalarIT4_EEPKT2_PKS3_PKS5_SD_lPS5_PiSB_iPS3_21rocsparse_index_base_20rocsparse_fill_mode_20rocsparse_diag_type_b, .Lfunc_end20-_ZN9rocsparseL12csrsv_kernelILj1024ELj64ELb0Eli21rocsparse_complex_numIfEEEvT3_NS_24const_host_device_scalarIT4_EEPKT2_PKS3_PKS5_SD_lPS5_PiSB_iPS3_21rocsparse_index_base_20rocsparse_fill_mode_20rocsparse_diag_type_b
                                        ; -- End function
	.set _ZN9rocsparseL12csrsv_kernelILj1024ELj64ELb0Eli21rocsparse_complex_numIfEEEvT3_NS_24const_host_device_scalarIT4_EEPKT2_PKS3_PKS5_SD_lPS5_PiSB_iPS3_21rocsparse_index_base_20rocsparse_fill_mode_20rocsparse_diag_type_b.num_vgpr, 15
	.set _ZN9rocsparseL12csrsv_kernelILj1024ELj64ELb0Eli21rocsparse_complex_numIfEEEvT3_NS_24const_host_device_scalarIT4_EEPKT2_PKS3_PKS5_SD_lPS5_PiSB_iPS3_21rocsparse_index_base_20rocsparse_fill_mode_20rocsparse_diag_type_b.num_agpr, 0
	.set _ZN9rocsparseL12csrsv_kernelILj1024ELj64ELb0Eli21rocsparse_complex_numIfEEEvT3_NS_24const_host_device_scalarIT4_EEPKT2_PKS3_PKS5_SD_lPS5_PiSB_iPS3_21rocsparse_index_base_20rocsparse_fill_mode_20rocsparse_diag_type_b.numbered_sgpr, 30
	.set _ZN9rocsparseL12csrsv_kernelILj1024ELj64ELb0Eli21rocsparse_complex_numIfEEEvT3_NS_24const_host_device_scalarIT4_EEPKT2_PKS3_PKS5_SD_lPS5_PiSB_iPS3_21rocsparse_index_base_20rocsparse_fill_mode_20rocsparse_diag_type_b.num_named_barrier, 0
	.set _ZN9rocsparseL12csrsv_kernelILj1024ELj64ELb0Eli21rocsparse_complex_numIfEEEvT3_NS_24const_host_device_scalarIT4_EEPKT2_PKS3_PKS5_SD_lPS5_PiSB_iPS3_21rocsparse_index_base_20rocsparse_fill_mode_20rocsparse_diag_type_b.private_seg_size, 0
	.set _ZN9rocsparseL12csrsv_kernelILj1024ELj64ELb0Eli21rocsparse_complex_numIfEEEvT3_NS_24const_host_device_scalarIT4_EEPKT2_PKS3_PKS5_SD_lPS5_PiSB_iPS3_21rocsparse_index_base_20rocsparse_fill_mode_20rocsparse_diag_type_b.uses_vcc, 1
	.set _ZN9rocsparseL12csrsv_kernelILj1024ELj64ELb0Eli21rocsparse_complex_numIfEEEvT3_NS_24const_host_device_scalarIT4_EEPKT2_PKS3_PKS5_SD_lPS5_PiSB_iPS3_21rocsparse_index_base_20rocsparse_fill_mode_20rocsparse_diag_type_b.uses_flat_scratch, 0
	.set _ZN9rocsparseL12csrsv_kernelILj1024ELj64ELb0Eli21rocsparse_complex_numIfEEEvT3_NS_24const_host_device_scalarIT4_EEPKT2_PKS3_PKS5_SD_lPS5_PiSB_iPS3_21rocsparse_index_base_20rocsparse_fill_mode_20rocsparse_diag_type_b.has_dyn_sized_stack, 0
	.set _ZN9rocsparseL12csrsv_kernelILj1024ELj64ELb0Eli21rocsparse_complex_numIfEEEvT3_NS_24const_host_device_scalarIT4_EEPKT2_PKS3_PKS5_SD_lPS5_PiSB_iPS3_21rocsparse_index_base_20rocsparse_fill_mode_20rocsparse_diag_type_b.has_recursion, 0
	.set _ZN9rocsparseL12csrsv_kernelILj1024ELj64ELb0Eli21rocsparse_complex_numIfEEEvT3_NS_24const_host_device_scalarIT4_EEPKT2_PKS3_PKS5_SD_lPS5_PiSB_iPS3_21rocsparse_index_base_20rocsparse_fill_mode_20rocsparse_diag_type_b.has_indirect_call, 0
	.section	.AMDGPU.csdata,"",@progbits
; Kernel info:
; codeLenInByte = 1764
; TotalNumSgprs: 32
; NumVgprs: 15
; ScratchSize: 0
; MemoryBound: 0
; FloatMode: 240
; IeeeMode: 1
; LDSByteSize: 128 bytes/workgroup (compile time only)
; SGPRBlocks: 0
; VGPRBlocks: 1
; NumSGPRsForWavesPerEU: 32
; NumVGPRsForWavesPerEU: 15
; Occupancy: 16
; WaveLimiterHint : 1
; COMPUTE_PGM_RSRC2:SCRATCH_EN: 0
; COMPUTE_PGM_RSRC2:USER_SGPR: 6
; COMPUTE_PGM_RSRC2:TRAP_HANDLER: 0
; COMPUTE_PGM_RSRC2:TGID_X_EN: 1
; COMPUTE_PGM_RSRC2:TGID_Y_EN: 0
; COMPUTE_PGM_RSRC2:TGID_Z_EN: 0
; COMPUTE_PGM_RSRC2:TIDIG_COMP_CNT: 0
	.section	.text._ZN9rocsparseL12csrsv_kernelILj1024ELj64ELb1Eli21rocsparse_complex_numIdEEEvT3_NS_24const_host_device_scalarIT4_EEPKT2_PKS3_PKS5_SD_lPS5_PiSB_iPS3_21rocsparse_index_base_20rocsparse_fill_mode_20rocsparse_diag_type_b,"axG",@progbits,_ZN9rocsparseL12csrsv_kernelILj1024ELj64ELb1Eli21rocsparse_complex_numIdEEEvT3_NS_24const_host_device_scalarIT4_EEPKT2_PKS3_PKS5_SD_lPS5_PiSB_iPS3_21rocsparse_index_base_20rocsparse_fill_mode_20rocsparse_diag_type_b,comdat
	.globl	_ZN9rocsparseL12csrsv_kernelILj1024ELj64ELb1Eli21rocsparse_complex_numIdEEEvT3_NS_24const_host_device_scalarIT4_EEPKT2_PKS3_PKS5_SD_lPS5_PiSB_iPS3_21rocsparse_index_base_20rocsparse_fill_mode_20rocsparse_diag_type_b ; -- Begin function _ZN9rocsparseL12csrsv_kernelILj1024ELj64ELb1Eli21rocsparse_complex_numIdEEEvT3_NS_24const_host_device_scalarIT4_EEPKT2_PKS3_PKS5_SD_lPS5_PiSB_iPS3_21rocsparse_index_base_20rocsparse_fill_mode_20rocsparse_diag_type_b
	.p2align	8
	.type	_ZN9rocsparseL12csrsv_kernelILj1024ELj64ELb1Eli21rocsparse_complex_numIdEEEvT3_NS_24const_host_device_scalarIT4_EEPKT2_PKS3_PKS5_SD_lPS5_PiSB_iPS3_21rocsparse_index_base_20rocsparse_fill_mode_20rocsparse_diag_type_b,@function
_ZN9rocsparseL12csrsv_kernelILj1024ELj64ELb1Eli21rocsparse_complex_numIdEEEvT3_NS_24const_host_device_scalarIT4_EEPKT2_PKS3_PKS5_SD_lPS5_PiSB_iPS3_21rocsparse_index_base_20rocsparse_fill_mode_20rocsparse_diag_type_b: ; @_ZN9rocsparseL12csrsv_kernelILj1024ELj64ELb1Eli21rocsparse_complex_numIdEEEvT3_NS_24const_host_device_scalarIT4_EEPKT2_PKS3_PKS5_SD_lPS5_PiSB_iPS3_21rocsparse_index_base_20rocsparse_fill_mode_20rocsparse_diag_type_b
; %bb.0:
	s_add_u32 s6, s6, s9
	s_addc_u32 s7, s7, 0
	s_setreg_b32 hwreg(HW_REG_FLAT_SCR_LO), s6
	s_setreg_b32 hwreg(HW_REG_FLAT_SCR_HI), s7
	s_clause 0x1
	s_load_dwordx4 s[12:15], s[4:5], 0x68
	s_load_dwordx4 s[16:19], s[4:5], 0x8
	s_add_u32 s0, s0, s9
	s_addc_u32 s1, s1, 0
	s_mov_b64 s[6:7], src_private_base
	s_waitcnt lgkmcnt(0)
	s_bitcmp1_b32 s15, 0
	v_mov_b32_e32 v3, s17
	s_cselect_b32 s6, -1, 0
	v_mov_b32_e32 v4, s16
	s_and_b32 vcc_lo, s6, exec_lo
	s_cselect_b32 s6, 0, s16
	s_cselect_b32 s7, s7, s17
	v_mov_b32_e32 v1, s6
	v_mov_b32_e32 v2, s7
	buffer_store_dword v3, off, s[0:3], 0 offset:4
	buffer_store_dword v4, off, s[0:3], 0
	v_mov_b32_e32 v8, s18
	v_mov_b32_e32 v9, s19
	flat_load_dwordx2 v[1:2], v[1:2]
	s_cbranch_vccnz .LBB21_2
; %bb.1:
	v_mov_b32_e32 v3, s16
	v_mov_b32_e32 v4, s17
	flat_load_dwordx2 v[8:9], v[3:4] offset:8
.LBB21_2:
	s_load_dword s7, s[4:5], 0x0
	v_readfirstlane_b32 s6, v0
	s_lshr_b32 s15, s6, 6
	s_lshl_b32 s6, s8, 4
	s_add_i32 s6, s15, s6
	s_waitcnt lgkmcnt(0)
	s_cmp_ge_i32 s6, s7
	s_cbranch_scc1 .LBB21_49
; %bb.3:
	s_clause 0x1
	s_load_dword s7, s[4:5], 0x58
	s_load_dwordx2 s[8:9], s[4:5], 0x50
	v_mov_b32_e32 v6, 0
	v_mov_b32_e32 v4, 0
	v_and_b32_e32 v15, 63, v0
	v_mov_b32_e32 v7, 0
	v_mov_b32_e32 v5, 0
	s_mov_b32 s20, exec_lo
	s_waitcnt lgkmcnt(0)
	s_add_i32 s6, s6, s7
	s_ashr_i32 s7, s6, 31
	s_lshl_b64 s[6:7], s[6:7], 2
	s_add_u32 s6, s8, s6
	s_addc_u32 s7, s9, s7
	s_load_dword s6, s[6:7], 0x0
	s_load_dwordx2 s[8:9], s[4:5], 0x18
	s_waitcnt lgkmcnt(0)
	s_ashr_i32 s7, s6, 31
	s_lshl_b64 s[10:11], s[6:7], 3
	s_add_u32 s16, s8, s10
	s_addc_u32 s17, s9, s11
	s_load_dwordx4 s[8:11], s[4:5], 0x40
	s_load_dwordx4 s[16:19], s[16:17], 0x0
	v_cmpx_eq_u32_e32 0, v15
	s_cbranch_execz .LBB21_5
; %bb.4:
	s_load_dwordx4 s[24:27], s[4:5], 0x30
	s_waitcnt lgkmcnt(0)
	s_mul_i32 s21, s26, s7
	s_mul_hi_u32 s22, s26, s6
	s_mul_i32 s23, s27, s6
	s_add_i32 s21, s22, s21
	s_mul_i32 s22, s26, s6
	s_add_i32 s23, s21, s23
	s_lshl_b64 s[22:23], s[22:23], 4
	s_add_u32 s22, s24, s22
	s_addc_u32 s23, s25, s23
	s_load_dwordx4 s[24:27], s[22:23], 0x0
	s_waitcnt vmcnt(0) lgkmcnt(0)
	v_mul_f64 v[3:4], s[26:27], -v[8:9]
	v_mul_f64 v[10:11], v[1:2], s[26:27]
	v_fma_f64 v[6:7], v[1:2], s[24:25], v[3:4]
	v_fma_f64 v[4:5], v[8:9], s[24:25], v[10:11]
.LBB21_5:
	s_or_b32 exec_lo, exec_lo, s20
	v_sub_co_u32 v0, s20, v15, s12
	s_waitcnt vmcnt(0)
	v_sub_co_ci_u32_e64 v1, null, 0, 0, s20
	v_mov_b32_e32 v16, 0
	s_waitcnt lgkmcnt(0)
	v_add_co_u32 v8, vcc_lo, s16, v0
	v_add_co_ci_u32_e64 v9, null, s17, v1, vcc_lo
	s_sub_u32 s20, s18, s12
	s_subb_u32 s21, s19, 0
	s_mov_b32 s24, exec_lo
	v_cmpx_gt_i64_e64 s[20:21], v[8:9]
	s_cbranch_execz .LBB21_45
; %bb.6:
	s_clause 0x1
	s_load_dwordx2 s[22:23], s[4:5], 0x60
	s_load_dwordx4 s[16:19], s[4:5], 0x20
	s_cmp_eq_u32 s14, 0
	s_mov_b32 s26, 0
	s_cselect_b32 s25, -1, 0
	s_add_i32 s27, s6, s12
	s_lshl_b32 s28, s15, 4
	s_branch .LBB21_8
.LBB21_7:                               ;   in Loop: Header=BB21_8 Depth=1
	s_or_b32 exec_lo, exec_lo, s5
	s_and_b32 s4, exec_lo, s4
	s_or_b32 s26, s4, s26
	s_andn2_b32 exec_lo, exec_lo, s26
	s_cbranch_execz .LBB21_44
.LBB21_8:                               ; =>This Loop Header: Depth=1
                                        ;     Child Loop BB21_33 Depth 2
                                        ;       Child Loop BB21_34 Depth 3
	v_lshlrev_b64 v[0:1], 4, v[8:9]
	v_lshlrev_b64 v[10:11], 2, v[8:9]
	s_waitcnt lgkmcnt(0)
	v_add_co_u32 v0, vcc_lo, s18, v0
	v_add_co_ci_u32_e64 v1, null, s19, v1, vcc_lo
	v_add_co_u32 v10, vcc_lo, s16, v10
	v_add_co_ci_u32_e64 v11, null, s17, v11, vcc_lo
	global_load_dwordx4 v[0:3], v[0:1], off slc
	global_load_dword v10, v[10:11], off slc
	s_waitcnt vmcnt(1)
	v_cmp_eq_f64_e64 s4, 0, v[0:1]
	v_cmp_eq_f64_e64 s5, 0, v[2:3]
	s_waitcnt vmcnt(0)
	v_subrev_nc_u32_e32 v10, s12, v10
	v_cmp_eq_u32_e32 vcc_lo, s6, v10
	s_and_b32 s5, s4, s5
	v_cmp_ne_u32_e64 s4, s6, v10
	s_and_b32 s5, s5, vcc_lo
	s_and_b32 s5, s25, s5
	s_and_saveexec_b32 s29, s5
	s_cbranch_execz .LBB21_12
; %bb.9:                                ;   in Loop: Header=BB21_8 Depth=1
	v_mbcnt_lo_u32_b32 v0, exec_lo, 0
	s_mov_b32 s30, exec_lo
	v_cmpx_eq_u32_e32 0, v0
	s_cbranch_execz .LBB21_11
; %bb.10:                               ;   in Loop: Header=BB21_8 Depth=1
	v_mov_b32_e32 v0, s27
	global_atomic_smin v16, v0, s[22:23]
.LBB21_11:                              ;   in Loop: Header=BB21_8 Depth=1
	s_or_b32 exec_lo, exec_lo, s30
	v_mov_b32_e32 v2, 0
	v_mov_b32_e32 v0, 0
	;; [unrolled: 1-line block ×4, first 2 shown]
.LBB21_12:                              ;   in Loop: Header=BB21_8 Depth=1
	s_or_b32 exec_lo, exec_lo, s29
	s_mov_b32 s5, -1
	s_mov_b32 s29, 0
	s_cmp_lt_i32 s13, 1
	s_mov_b32 s30, 0
	s_cbranch_scc1 .LBB21_22
; %bb.13:                               ;   in Loop: Header=BB21_8 Depth=1
	s_cmp_eq_u32 s13, 1
	s_mov_b32 s30, -1
	s_cbranch_scc0 .LBB21_21
; %bb.14:                               ;   in Loop: Header=BB21_8 Depth=1
	s_mov_b32 s30, 0
	s_mov_b32 s31, exec_lo
	v_cmpx_le_i32_e64 s6, v10
	s_cbranch_execz .LBB21_20
; %bb.15:                               ;   in Loop: Header=BB21_8 Depth=1
	s_mov_b32 s30, -1
	s_and_saveexec_b32 s5, vcc_lo
	s_xor_b32 s5, exec_lo, s5
	s_cbranch_execz .LBB21_19
; %bb.16:                               ;   in Loop: Header=BB21_8 Depth=1
	s_andn2_b32 vcc_lo, exec_lo, s25
	s_cbranch_vccnz .LBB21_18
; %bb.17:                               ;   in Loop: Header=BB21_8 Depth=1
	v_mul_f64 v[11:12], v[2:3], v[2:3]
	v_fma_f64 v[11:12], v[0:1], v[0:1], v[11:12]
	v_div_scale_f64 v[13:14], null, v[11:12], v[11:12], 1.0
	v_div_scale_f64 v[21:22], vcc_lo, 1.0, v[11:12], 1.0
	v_rcp_f64_e32 v[17:18], v[13:14]
	v_fma_f64 v[19:20], -v[13:14], v[17:18], 1.0
	v_fma_f64 v[17:18], v[17:18], v[19:20], v[17:18]
	v_fma_f64 v[19:20], -v[13:14], v[17:18], 1.0
	v_fma_f64 v[17:18], v[17:18], v[19:20], v[17:18]
	v_mul_f64 v[19:20], v[21:22], v[17:18]
	v_fma_f64 v[13:14], -v[13:14], v[19:20], v[21:22]
	v_div_fmas_f64 v[13:14], v[13:14], v[17:18], v[19:20]
	v_fma_f64 v[17:18], v[2:3], 0, v[0:1]
	v_fma_f64 v[19:20], v[0:1], 0, -v[2:3]
	v_div_fixup_f64 v[13:14], v[13:14], v[11:12], 1.0
	v_mul_f64 v[11:12], v[17:18], v[13:14]
	v_mul_f64 v[13:14], v[19:20], v[13:14]
	v_mov_b32_e32 v17, s28
	ds_write_b128 v17, v[11:14]
.LBB21_18:                              ;   in Loop: Header=BB21_8 Depth=1
	s_xor_b32 s30, exec_lo, -1
.LBB21_19:                              ;   in Loop: Header=BB21_8 Depth=1
	s_or_b32 exec_lo, exec_lo, s5
	s_and_b32 s30, s30, exec_lo
.LBB21_20:                              ;   in Loop: Header=BB21_8 Depth=1
	s_or_b32 exec_lo, exec_lo, s31
.LBB21_21:                              ;   in Loop: Header=BB21_8 Depth=1
	s_mov_b32 s5, 0
.LBB21_22:                              ;   in Loop: Header=BB21_8 Depth=1
	s_and_b32 vcc_lo, exec_lo, s5
	s_mov_b32 s5, 4
	s_cbranch_vccz .LBB21_29
; %bb.23:                               ;   in Loop: Header=BB21_8 Depth=1
	s_cmp_eq_u32 s13, 0
	s_cbranch_scc1 .LBB21_25
; %bb.24:                               ;   in Loop: Header=BB21_8 Depth=1
	s_mov_b32 s30, -1
	s_branch .LBB21_28
.LBB21_25:                              ;   in Loop: Header=BB21_8 Depth=1
	s_mov_b32 s30, 0
	s_mov_b32 s5, exec_lo
	v_cmpx_ge_i32_e64 s6, v10
; %bb.26:                               ;   in Loop: Header=BB21_8 Depth=1
	s_mov_b32 s29, exec_lo
	s_and_b32 s30, s4, exec_lo
; %bb.27:                               ;   in Loop: Header=BB21_8 Depth=1
	s_or_b32 exec_lo, exec_lo, s5
.LBB21_28:                              ;   in Loop: Header=BB21_8 Depth=1
	s_mov_b32 s5, 2
.LBB21_29:                              ;   in Loop: Header=BB21_8 Depth=1
	v_mov_b32_e32 v14, v5
	v_mov_b32_e32 v12, v7
	;; [unrolled: 1-line block ×5, first 2 shown]
	s_and_saveexec_b32 s4, s30
	s_cbranch_execz .LBB21_36
; %bb.30:                               ;   in Loop: Header=BB21_8 Depth=1
	v_ashrrev_i32_e32 v11, 31, v10
	s_mov_b32 s5, exec_lo
	v_lshlrev_b64 v[12:13], 2, v[10:11]
	v_add_co_u32 v12, vcc_lo, s10, v12
	v_add_co_ci_u32_e64 v13, null, s11, v13, vcc_lo
	global_load_dword v14, v[12:13], off glc dlc
	s_waitcnt vmcnt(0)
	v_cmpx_eq_u32_e32 0, v14
	s_cbranch_execz .LBB21_35
; %bb.31:                               ;   in Loop: Header=BB21_8 Depth=1
	s_mov_b32 s30, 0
	s_mov_b32 s31, 0
	s_branch .LBB21_33
	.p2align	6
.LBB21_32:                              ;   in Loop: Header=BB21_33 Depth=2
	global_load_dword v14, v[12:13], off glc dlc
	s_cmpk_lt_u32 s31, 0xf43
	s_cselect_b32 s33, -1, 0
	s_cmp_lg_u32 s33, 0
	s_addc_u32 s31, s31, 0
	s_waitcnt vmcnt(0)
	v_cmp_ne_u32_e32 vcc_lo, 0, v14
	s_or_b32 s30, vcc_lo, s30
	s_andn2_b32 exec_lo, exec_lo, s30
	s_cbranch_execz .LBB21_35
.LBB21_33:                              ;   Parent Loop BB21_8 Depth=1
                                        ; =>  This Loop Header: Depth=2
                                        ;       Child Loop BB21_34 Depth 3
	s_cmp_eq_u32 s31, 0
	s_mov_b32 s33, s31
	s_cbranch_scc1 .LBB21_32
.LBB21_34:                              ;   Parent Loop BB21_8 Depth=1
                                        ;     Parent Loop BB21_33 Depth=2
                                        ; =>    This Inner Loop Header: Depth=3
	s_add_i32 s33, s33, -1
	s_sleep 1
	s_cmp_eq_u32 s33, 0
	s_cbranch_scc0 .LBB21_34
	s_branch .LBB21_32
.LBB21_35:                              ;   in Loop: Header=BB21_8 Depth=1
	s_or_b32 exec_lo, exec_lo, s5
	v_lshlrev_b64 v[10:11], 4, v[10:11]
	s_waitcnt lgkmcnt(0)
	s_waitcnt_vscnt null, 0x0
	buffer_gl1_inv
	buffer_gl0_inv
	s_andn2_b32 s29, s29, exec_lo
	v_add_co_u32 v10, vcc_lo, s8, v10
	v_add_co_ci_u32_e64 v11, null, s9, v11, vcc_lo
	global_load_dwordx4 v[11:14], v[10:11], off
	s_waitcnt vmcnt(0)
	v_fma_f64 v[17:18], -v[0:1], v[11:12], v[6:7]
	v_fma_f64 v[19:20], -v[2:3], v[11:12], v[4:5]
	v_fma_f64 v[11:12], v[2:3], v[13:14], v[17:18]
	v_fma_f64 v[13:14], -v[0:1], v[13:14], v[19:20]
	v_mov_b32_e32 v17, 0
.LBB21_36:                              ;   in Loop: Header=BB21_8 Depth=1
	s_or_b32 exec_lo, exec_lo, s4
	s_and_saveexec_b32 s4, s29
	s_cbranch_execz .LBB21_40
; %bb.37:                               ;   in Loop: Header=BB21_8 Depth=1
	s_andn2_b32 vcc_lo, exec_lo, s25
	s_cbranch_vccnz .LBB21_39
; %bb.38:                               ;   in Loop: Header=BB21_8 Depth=1
	v_mul_f64 v[10:11], v[2:3], v[2:3]
	v_fma_f64 v[10:11], v[0:1], v[0:1], v[10:11]
	v_div_scale_f64 v[12:13], null, v[10:11], v[10:11], 1.0
	v_div_scale_f64 v[21:22], vcc_lo, 1.0, v[10:11], 1.0
	v_rcp_f64_e32 v[17:18], v[12:13]
	v_fma_f64 v[19:20], -v[12:13], v[17:18], 1.0
	v_fma_f64 v[17:18], v[17:18], v[19:20], v[17:18]
	v_fma_f64 v[19:20], -v[12:13], v[17:18], 1.0
	v_fma_f64 v[17:18], v[17:18], v[19:20], v[17:18]
	v_mul_f64 v[19:20], v[21:22], v[17:18]
	v_fma_f64 v[12:13], -v[12:13], v[19:20], v[21:22]
	v_div_fmas_f64 v[12:13], v[12:13], v[17:18], v[19:20]
	v_fma_f64 v[17:18], v[2:3], 0, v[0:1]
	v_fma_f64 v[2:3], v[0:1], 0, -v[2:3]
	v_div_fixup_f64 v[10:11], v[12:13], v[10:11], 1.0
	v_mul_f64 v[0:1], v[17:18], v[10:11]
	v_mul_f64 v[2:3], v[2:3], v[10:11]
	v_mov_b32_e32 v10, s28
	ds_write_b128 v10, v[0:3]
.LBB21_39:                              ;   in Loop: Header=BB21_8 Depth=1
	v_mov_b32_e32 v12, v7
	v_mov_b32_e32 v14, v5
	;; [unrolled: 1-line block ×5, first 2 shown]
.LBB21_40:                              ;   in Loop: Header=BB21_8 Depth=1
	s_or_b32 exec_lo, exec_lo, s4
	v_mov_b32_e32 v4, v13
	v_mov_b32_e32 v6, v11
	;; [unrolled: 1-line block ×4, first 2 shown]
	s_mov_b32 s4, -1
	s_mov_b32 s29, -1
	s_mov_b32 s5, exec_lo
	v_cmpx_gt_i32_e32 4, v17
; %bb.41:                               ;   in Loop: Header=BB21_8 Depth=1
	v_cmp_eq_u32_e32 vcc_lo, 0, v17
	s_orn2_b32 s29, vcc_lo, exec_lo
; %bb.42:                               ;   in Loop: Header=BB21_8 Depth=1
	s_or_b32 exec_lo, exec_lo, s5
	s_and_saveexec_b32 s5, s29
	s_cbranch_execz .LBB21_7
; %bb.43:                               ;   in Loop: Header=BB21_8 Depth=1
	v_add_co_u32 v8, vcc_lo, v8, 64
	v_add_co_ci_u32_e64 v9, null, 0, v9, vcc_lo
	v_cmp_le_i64_e32 vcc_lo, s[20:21], v[8:9]
	s_orn2_b32 s4, vcc_lo, exec_lo
	s_branch .LBB21_7
.LBB21_44:
	s_or_b32 exec_lo, exec_lo, s26
.LBB21_45:
	s_or_b32 exec_lo, exec_lo, s24
	v_mbcnt_lo_u32_b32 v8, -1, 0
	s_cmp_lg_u32 s14, 0
	v_or_b32_e32 v0, 32, v8
	v_cmp_gt_i32_e32 vcc_lo, 32, v0
	v_cndmask_b32_e32 v0, v8, v0, vcc_lo
	v_lshlrev_b32_e32 v3, 2, v0
	ds_bpermute_b32 v0, v3, v6
	ds_bpermute_b32 v1, v3, v7
	;; [unrolled: 1-line block ×4, first 2 shown]
	s_waitcnt lgkmcnt(2)
	v_add_f64 v[0:1], v[6:7], v[0:1]
	s_waitcnt lgkmcnt(0)
	v_add_f64 v[2:3], v[4:5], v[2:3]
	v_xor_b32_e32 v4, 16, v8
	v_cmp_gt_i32_e32 vcc_lo, 32, v4
	v_cndmask_b32_e32 v4, v8, v4, vcc_lo
	v_lshlrev_b32_e32 v7, 2, v4
	ds_bpermute_b32 v4, v7, v0
	ds_bpermute_b32 v5, v7, v1
	ds_bpermute_b32 v6, v7, v2
	ds_bpermute_b32 v7, v7, v3
	s_waitcnt lgkmcnt(2)
	v_add_f64 v[0:1], v[0:1], v[4:5]
	v_xor_b32_e32 v4, 8, v8
	s_waitcnt lgkmcnt(0)
	v_add_f64 v[2:3], v[2:3], v[6:7]
	v_cmp_gt_i32_e32 vcc_lo, 32, v4
	v_cndmask_b32_e32 v4, v8, v4, vcc_lo
	v_lshlrev_b32_e32 v7, 2, v4
	ds_bpermute_b32 v4, v7, v0
	ds_bpermute_b32 v5, v7, v1
	ds_bpermute_b32 v6, v7, v2
	ds_bpermute_b32 v7, v7, v3
	s_waitcnt lgkmcnt(2)
	v_add_f64 v[0:1], v[0:1], v[4:5]
	v_xor_b32_e32 v4, 4, v8
	s_waitcnt lgkmcnt(0)
	v_add_f64 v[2:3], v[2:3], v[6:7]
	v_cmp_gt_i32_e32 vcc_lo, 32, v4
	v_cndmask_b32_e32 v4, v8, v4, vcc_lo
	v_lshlrev_b32_e32 v7, 2, v4
	ds_bpermute_b32 v4, v7, v0
	ds_bpermute_b32 v5, v7, v1
	ds_bpermute_b32 v6, v7, v2
	ds_bpermute_b32 v7, v7, v3
	s_waitcnt lgkmcnt(2)
	v_add_f64 v[0:1], v[0:1], v[4:5]
	v_xor_b32_e32 v4, 2, v8
	s_waitcnt lgkmcnt(0)
	v_add_f64 v[2:3], v[2:3], v[6:7]
	v_cmp_gt_i32_e32 vcc_lo, 32, v4
	v_cndmask_b32_e32 v4, v8, v4, vcc_lo
	v_lshlrev_b32_e32 v7, 2, v4
	ds_bpermute_b32 v4, v7, v0
	ds_bpermute_b32 v5, v7, v1
	ds_bpermute_b32 v6, v7, v2
	ds_bpermute_b32 v7, v7, v3
	s_waitcnt lgkmcnt(2)
	v_add_f64 v[0:1], v[0:1], v[4:5]
	v_xor_b32_e32 v4, 1, v8
	s_waitcnt lgkmcnt(0)
	v_add_f64 v[2:3], v[2:3], v[6:7]
	v_cmp_gt_i32_e32 vcc_lo, 32, v4
	v_cndmask_b32_e32 v4, v8, v4, vcc_lo
	v_lshlrev_b32_e32 v7, 2, v4
	ds_bpermute_b32 v4, v7, v0
	ds_bpermute_b32 v5, v7, v1
	;; [unrolled: 1-line block ×4, first 2 shown]
	s_waitcnt lgkmcnt(2)
	v_add_f64 v[0:1], v[0:1], v[4:5]
	s_waitcnt lgkmcnt(0)
	v_add_f64 v[2:3], v[2:3], v[6:7]
	s_cbranch_scc1 .LBB21_47
; %bb.46:
	s_lshl_b32 s4, s15, 4
	s_waitcnt_vscnt null, 0x0
	buffer_gl0_inv
	v_mov_b32_e32 v4, s4
	ds_read_b128 v[4:7], v4
	s_waitcnt lgkmcnt(0)
	v_mul_f64 v[8:9], v[6:7], -v[2:3]
	v_mul_f64 v[6:7], v[0:1], v[6:7]
	v_fma_f64 v[0:1], v[0:1], v[4:5], v[8:9]
	v_fma_f64 v[2:3], v[2:3], v[4:5], v[6:7]
.LBB21_47:
	s_mov_b32 s4, exec_lo
	v_cmpx_eq_u32_e32 63, v15
	s_cbranch_execz .LBB21_49
; %bb.48:
	s_lshl_b64 s[4:5], s[6:7], 4
	v_mov_b32_e32 v4, 0
	s_add_u32 s4, s8, s4
	s_addc_u32 s5, s9, s5
	s_lshl_b64 s[6:7], s[6:7], 2
	v_mov_b32_e32 v5, 1
	s_add_u32 s6, s10, s6
	s_addc_u32 s7, s11, s7
	global_store_dwordx4 v4, v[0:3], s[4:5] glc slc
	s_waitcnt_vscnt null, 0x0
	global_store_dword v4, v5, s[6:7]
.LBB21_49:
	s_endpgm
	.section	.rodata,"a",@progbits
	.p2align	6, 0x0
	.amdhsa_kernel _ZN9rocsparseL12csrsv_kernelILj1024ELj64ELb1Eli21rocsparse_complex_numIdEEEvT3_NS_24const_host_device_scalarIT4_EEPKT2_PKS3_PKS5_SD_lPS5_PiSB_iPS3_21rocsparse_index_base_20rocsparse_fill_mode_20rocsparse_diag_type_b
		.amdhsa_group_segment_fixed_size 256
		.amdhsa_private_segment_fixed_size 16
		.amdhsa_kernarg_size 120
		.amdhsa_user_sgpr_count 8
		.amdhsa_user_sgpr_private_segment_buffer 1
		.amdhsa_user_sgpr_dispatch_ptr 0
		.amdhsa_user_sgpr_queue_ptr 0
		.amdhsa_user_sgpr_kernarg_segment_ptr 1
		.amdhsa_user_sgpr_dispatch_id 0
		.amdhsa_user_sgpr_flat_scratch_init 1
		.amdhsa_user_sgpr_private_segment_size 0
		.amdhsa_wavefront_size32 1
		.amdhsa_uses_dynamic_stack 0
		.amdhsa_system_sgpr_private_segment_wavefront_offset 1
		.amdhsa_system_sgpr_workgroup_id_x 1
		.amdhsa_system_sgpr_workgroup_id_y 0
		.amdhsa_system_sgpr_workgroup_id_z 0
		.amdhsa_system_sgpr_workgroup_info 0
		.amdhsa_system_vgpr_workitem_id 0
		.amdhsa_next_free_vgpr 23
		.amdhsa_next_free_sgpr 34
		.amdhsa_reserve_vcc 1
		.amdhsa_reserve_flat_scratch 1
		.amdhsa_float_round_mode_32 0
		.amdhsa_float_round_mode_16_64 0
		.amdhsa_float_denorm_mode_32 3
		.amdhsa_float_denorm_mode_16_64 3
		.amdhsa_dx10_clamp 1
		.amdhsa_ieee_mode 1
		.amdhsa_fp16_overflow 0
		.amdhsa_workgroup_processor_mode 1
		.amdhsa_memory_ordered 1
		.amdhsa_forward_progress 1
		.amdhsa_shared_vgpr_count 0
		.amdhsa_exception_fp_ieee_invalid_op 0
		.amdhsa_exception_fp_denorm_src 0
		.amdhsa_exception_fp_ieee_div_zero 0
		.amdhsa_exception_fp_ieee_overflow 0
		.amdhsa_exception_fp_ieee_underflow 0
		.amdhsa_exception_fp_ieee_inexact 0
		.amdhsa_exception_int_div_zero 0
	.end_amdhsa_kernel
	.section	.text._ZN9rocsparseL12csrsv_kernelILj1024ELj64ELb1Eli21rocsparse_complex_numIdEEEvT3_NS_24const_host_device_scalarIT4_EEPKT2_PKS3_PKS5_SD_lPS5_PiSB_iPS3_21rocsparse_index_base_20rocsparse_fill_mode_20rocsparse_diag_type_b,"axG",@progbits,_ZN9rocsparseL12csrsv_kernelILj1024ELj64ELb1Eli21rocsparse_complex_numIdEEEvT3_NS_24const_host_device_scalarIT4_EEPKT2_PKS3_PKS5_SD_lPS5_PiSB_iPS3_21rocsparse_index_base_20rocsparse_fill_mode_20rocsparse_diag_type_b,comdat
.Lfunc_end21:
	.size	_ZN9rocsparseL12csrsv_kernelILj1024ELj64ELb1Eli21rocsparse_complex_numIdEEEvT3_NS_24const_host_device_scalarIT4_EEPKT2_PKS3_PKS5_SD_lPS5_PiSB_iPS3_21rocsparse_index_base_20rocsparse_fill_mode_20rocsparse_diag_type_b, .Lfunc_end21-_ZN9rocsparseL12csrsv_kernelILj1024ELj64ELb1Eli21rocsparse_complex_numIdEEEvT3_NS_24const_host_device_scalarIT4_EEPKT2_PKS3_PKS5_SD_lPS5_PiSB_iPS3_21rocsparse_index_base_20rocsparse_fill_mode_20rocsparse_diag_type_b
                                        ; -- End function
	.set _ZN9rocsparseL12csrsv_kernelILj1024ELj64ELb1Eli21rocsparse_complex_numIdEEEvT3_NS_24const_host_device_scalarIT4_EEPKT2_PKS3_PKS5_SD_lPS5_PiSB_iPS3_21rocsparse_index_base_20rocsparse_fill_mode_20rocsparse_diag_type_b.num_vgpr, 23
	.set _ZN9rocsparseL12csrsv_kernelILj1024ELj64ELb1Eli21rocsparse_complex_numIdEEEvT3_NS_24const_host_device_scalarIT4_EEPKT2_PKS3_PKS5_SD_lPS5_PiSB_iPS3_21rocsparse_index_base_20rocsparse_fill_mode_20rocsparse_diag_type_b.num_agpr, 0
	.set _ZN9rocsparseL12csrsv_kernelILj1024ELj64ELb1Eli21rocsparse_complex_numIdEEEvT3_NS_24const_host_device_scalarIT4_EEPKT2_PKS3_PKS5_SD_lPS5_PiSB_iPS3_21rocsparse_index_base_20rocsparse_fill_mode_20rocsparse_diag_type_b.numbered_sgpr, 34
	.set _ZN9rocsparseL12csrsv_kernelILj1024ELj64ELb1Eli21rocsparse_complex_numIdEEEvT3_NS_24const_host_device_scalarIT4_EEPKT2_PKS3_PKS5_SD_lPS5_PiSB_iPS3_21rocsparse_index_base_20rocsparse_fill_mode_20rocsparse_diag_type_b.num_named_barrier, 0
	.set _ZN9rocsparseL12csrsv_kernelILj1024ELj64ELb1Eli21rocsparse_complex_numIdEEEvT3_NS_24const_host_device_scalarIT4_EEPKT2_PKS3_PKS5_SD_lPS5_PiSB_iPS3_21rocsparse_index_base_20rocsparse_fill_mode_20rocsparse_diag_type_b.private_seg_size, 16
	.set _ZN9rocsparseL12csrsv_kernelILj1024ELj64ELb1Eli21rocsparse_complex_numIdEEEvT3_NS_24const_host_device_scalarIT4_EEPKT2_PKS3_PKS5_SD_lPS5_PiSB_iPS3_21rocsparse_index_base_20rocsparse_fill_mode_20rocsparse_diag_type_b.uses_vcc, 1
	.set _ZN9rocsparseL12csrsv_kernelILj1024ELj64ELb1Eli21rocsparse_complex_numIdEEEvT3_NS_24const_host_device_scalarIT4_EEPKT2_PKS3_PKS5_SD_lPS5_PiSB_iPS3_21rocsparse_index_base_20rocsparse_fill_mode_20rocsparse_diag_type_b.uses_flat_scratch, 1
	.set _ZN9rocsparseL12csrsv_kernelILj1024ELj64ELb1Eli21rocsparse_complex_numIdEEEvT3_NS_24const_host_device_scalarIT4_EEPKT2_PKS3_PKS5_SD_lPS5_PiSB_iPS3_21rocsparse_index_base_20rocsparse_fill_mode_20rocsparse_diag_type_b.has_dyn_sized_stack, 0
	.set _ZN9rocsparseL12csrsv_kernelILj1024ELj64ELb1Eli21rocsparse_complex_numIdEEEvT3_NS_24const_host_device_scalarIT4_EEPKT2_PKS3_PKS5_SD_lPS5_PiSB_iPS3_21rocsparse_index_base_20rocsparse_fill_mode_20rocsparse_diag_type_b.has_recursion, 0
	.set _ZN9rocsparseL12csrsv_kernelILj1024ELj64ELb1Eli21rocsparse_complex_numIdEEEvT3_NS_24const_host_device_scalarIT4_EEPKT2_PKS3_PKS5_SD_lPS5_PiSB_iPS3_21rocsparse_index_base_20rocsparse_fill_mode_20rocsparse_diag_type_b.has_indirect_call, 0
	.section	.AMDGPU.csdata,"",@progbits
; Kernel info:
; codeLenInByte = 2188
; TotalNumSgprs: 36
; NumVgprs: 23
; ScratchSize: 16
; MemoryBound: 0
; FloatMode: 240
; IeeeMode: 1
; LDSByteSize: 256 bytes/workgroup (compile time only)
; SGPRBlocks: 0
; VGPRBlocks: 2
; NumSGPRsForWavesPerEU: 36
; NumVGPRsForWavesPerEU: 23
; Occupancy: 16
; WaveLimiterHint : 1
; COMPUTE_PGM_RSRC2:SCRATCH_EN: 1
; COMPUTE_PGM_RSRC2:USER_SGPR: 8
; COMPUTE_PGM_RSRC2:TRAP_HANDLER: 0
; COMPUTE_PGM_RSRC2:TGID_X_EN: 1
; COMPUTE_PGM_RSRC2:TGID_Y_EN: 0
; COMPUTE_PGM_RSRC2:TGID_Z_EN: 0
; COMPUTE_PGM_RSRC2:TIDIG_COMP_CNT: 0
	.section	.text._ZN9rocsparseL12csrsv_kernelILj1024ELj32ELb0Eli21rocsparse_complex_numIdEEEvT3_NS_24const_host_device_scalarIT4_EEPKT2_PKS3_PKS5_SD_lPS5_PiSB_iPS3_21rocsparse_index_base_20rocsparse_fill_mode_20rocsparse_diag_type_b,"axG",@progbits,_ZN9rocsparseL12csrsv_kernelILj1024ELj32ELb0Eli21rocsparse_complex_numIdEEEvT3_NS_24const_host_device_scalarIT4_EEPKT2_PKS3_PKS5_SD_lPS5_PiSB_iPS3_21rocsparse_index_base_20rocsparse_fill_mode_20rocsparse_diag_type_b,comdat
	.globl	_ZN9rocsparseL12csrsv_kernelILj1024ELj32ELb0Eli21rocsparse_complex_numIdEEEvT3_NS_24const_host_device_scalarIT4_EEPKT2_PKS3_PKS5_SD_lPS5_PiSB_iPS3_21rocsparse_index_base_20rocsparse_fill_mode_20rocsparse_diag_type_b ; -- Begin function _ZN9rocsparseL12csrsv_kernelILj1024ELj32ELb0Eli21rocsparse_complex_numIdEEEvT3_NS_24const_host_device_scalarIT4_EEPKT2_PKS3_PKS5_SD_lPS5_PiSB_iPS3_21rocsparse_index_base_20rocsparse_fill_mode_20rocsparse_diag_type_b
	.p2align	8
	.type	_ZN9rocsparseL12csrsv_kernelILj1024ELj32ELb0Eli21rocsparse_complex_numIdEEEvT3_NS_24const_host_device_scalarIT4_EEPKT2_PKS3_PKS5_SD_lPS5_PiSB_iPS3_21rocsparse_index_base_20rocsparse_fill_mode_20rocsparse_diag_type_b,@function
_ZN9rocsparseL12csrsv_kernelILj1024ELj32ELb0Eli21rocsparse_complex_numIdEEEvT3_NS_24const_host_device_scalarIT4_EEPKT2_PKS3_PKS5_SD_lPS5_PiSB_iPS3_21rocsparse_index_base_20rocsparse_fill_mode_20rocsparse_diag_type_b: ; @_ZN9rocsparseL12csrsv_kernelILj1024ELj32ELb0Eli21rocsparse_complex_numIdEEEvT3_NS_24const_host_device_scalarIT4_EEPKT2_PKS3_PKS5_SD_lPS5_PiSB_iPS3_21rocsparse_index_base_20rocsparse_fill_mode_20rocsparse_diag_type_b
; %bb.0:
	s_add_u32 s6, s6, s9
	s_addc_u32 s7, s7, 0
	s_setreg_b32 hwreg(HW_REG_FLAT_SCR_LO), s6
	s_setreg_b32 hwreg(HW_REG_FLAT_SCR_HI), s7
	s_clause 0x1
	s_load_dwordx4 s[12:15], s[4:5], 0x68
	s_load_dwordx4 s[16:19], s[4:5], 0x8
	s_add_u32 s0, s0, s9
	s_addc_u32 s1, s1, 0
	s_mov_b64 s[6:7], src_private_base
	s_waitcnt lgkmcnt(0)
	s_bitcmp1_b32 s15, 0
	v_mov_b32_e32 v3, s17
	s_cselect_b32 s6, -1, 0
	v_mov_b32_e32 v4, s16
	s_and_b32 vcc_lo, s6, exec_lo
	s_cselect_b32 s6, 0, s16
	s_cselect_b32 s7, s7, s17
	v_mov_b32_e32 v1, s6
	v_mov_b32_e32 v2, s7
	buffer_store_dword v3, off, s[0:3], 0 offset:4
	buffer_store_dword v4, off, s[0:3], 0
	v_mov_b32_e32 v8, s18
	v_mov_b32_e32 v9, s19
	flat_load_dwordx2 v[1:2], v[1:2]
	s_cbranch_vccnz .LBB22_2
; %bb.1:
	v_mov_b32_e32 v3, s16
	v_mov_b32_e32 v4, s17
	flat_load_dwordx2 v[8:9], v[3:4] offset:8
.LBB22_2:
	s_load_dword s7, s[4:5], 0x0
	v_readfirstlane_b32 s6, v0
	s_lshr_b32 s15, s6, 5
	s_lshl_b32 s6, s8, 5
	s_add_i32 s6, s15, s6
	s_waitcnt lgkmcnt(0)
	s_cmp_ge_i32 s6, s7
	s_cbranch_scc1 .LBB22_47
; %bb.3:
	s_clause 0x1
	s_load_dword s7, s[4:5], 0x58
	s_load_dwordx2 s[8:9], s[4:5], 0x50
	v_mov_b32_e32 v6, 0
	v_mov_b32_e32 v4, 0
	v_and_b32_e32 v15, 31, v0
	v_mov_b32_e32 v7, 0
	v_mov_b32_e32 v5, 0
	s_mov_b32 s20, exec_lo
	s_waitcnt lgkmcnt(0)
	s_add_i32 s6, s6, s7
	s_ashr_i32 s7, s6, 31
	s_lshl_b64 s[6:7], s[6:7], 2
	s_add_u32 s6, s8, s6
	s_addc_u32 s7, s9, s7
	s_load_dword s6, s[6:7], 0x0
	s_load_dwordx2 s[8:9], s[4:5], 0x18
	s_waitcnt lgkmcnt(0)
	s_ashr_i32 s7, s6, 31
	s_lshl_b64 s[10:11], s[6:7], 3
	s_add_u32 s16, s8, s10
	s_addc_u32 s17, s9, s11
	s_load_dwordx4 s[8:11], s[4:5], 0x40
	s_load_dwordx4 s[16:19], s[16:17], 0x0
	v_cmpx_eq_u32_e32 0, v15
	s_cbranch_execz .LBB22_5
; %bb.4:
	s_load_dwordx4 s[24:27], s[4:5], 0x30
	s_waitcnt lgkmcnt(0)
	s_mul_i32 s21, s26, s7
	s_mul_hi_u32 s22, s26, s6
	s_mul_i32 s23, s27, s6
	s_add_i32 s21, s22, s21
	s_mul_i32 s22, s26, s6
	s_add_i32 s23, s21, s23
	s_lshl_b64 s[22:23], s[22:23], 4
	s_add_u32 s22, s24, s22
	s_addc_u32 s23, s25, s23
	s_load_dwordx4 s[24:27], s[22:23], 0x0
	s_waitcnt vmcnt(0) lgkmcnt(0)
	v_mul_f64 v[3:4], s[26:27], -v[8:9]
	v_mul_f64 v[10:11], v[1:2], s[26:27]
	v_fma_f64 v[6:7], v[1:2], s[24:25], v[3:4]
	v_fma_f64 v[4:5], v[8:9], s[24:25], v[10:11]
.LBB22_5:
	s_or_b32 exec_lo, exec_lo, s20
	v_sub_co_u32 v0, s20, v15, s12
	s_waitcnt vmcnt(0)
	v_sub_co_ci_u32_e64 v1, null, 0, 0, s20
	v_mov_b32_e32 v16, 0
	s_waitcnt lgkmcnt(0)
	v_add_co_u32 v8, vcc_lo, s16, v0
	v_add_co_ci_u32_e64 v9, null, s17, v1, vcc_lo
	s_sub_u32 s20, s18, s12
	s_subb_u32 s21, s19, 0
	s_mov_b32 s24, exec_lo
	v_cmpx_gt_i64_e64 s[20:21], v[8:9]
	s_cbranch_execz .LBB22_43
; %bb.6:
	s_clause 0x1
	s_load_dwordx2 s[22:23], s[4:5], 0x60
	s_load_dwordx4 s[16:19], s[4:5], 0x20
	s_cmp_eq_u32 s14, 0
	s_mov_b32 s26, 0
	s_cselect_b32 s25, -1, 0
	s_add_i32 s27, s6, s12
	s_lshl_b32 s28, s15, 4
	s_branch .LBB22_8
.LBB22_7:                               ;   in Loop: Header=BB22_8 Depth=1
	s_or_b32 exec_lo, exec_lo, s5
	s_and_b32 s4, exec_lo, s4
	s_or_b32 s26, s4, s26
	s_andn2_b32 exec_lo, exec_lo, s26
	s_cbranch_execz .LBB22_42
.LBB22_8:                               ; =>This Loop Header: Depth=1
                                        ;     Child Loop BB22_32 Depth 2
	v_lshlrev_b64 v[0:1], 4, v[8:9]
	v_lshlrev_b64 v[10:11], 2, v[8:9]
	s_waitcnt lgkmcnt(0)
	v_add_co_u32 v0, vcc_lo, s18, v0
	v_add_co_ci_u32_e64 v1, null, s19, v1, vcc_lo
	v_add_co_u32 v10, vcc_lo, s16, v10
	v_add_co_ci_u32_e64 v11, null, s17, v11, vcc_lo
	global_load_dwordx4 v[0:3], v[0:1], off slc
	global_load_dword v10, v[10:11], off slc
	s_waitcnt vmcnt(1)
	v_cmp_eq_f64_e64 s4, 0, v[0:1]
	v_cmp_eq_f64_e64 s5, 0, v[2:3]
	s_waitcnt vmcnt(0)
	v_subrev_nc_u32_e32 v10, s12, v10
	v_cmp_eq_u32_e32 vcc_lo, s6, v10
	s_and_b32 s5, s4, s5
	v_cmp_ne_u32_e64 s4, s6, v10
	s_and_b32 s5, s5, vcc_lo
	s_and_b32 s5, s25, s5
	s_and_saveexec_b32 s29, s5
	s_cbranch_execz .LBB22_12
; %bb.9:                                ;   in Loop: Header=BB22_8 Depth=1
	v_mbcnt_lo_u32_b32 v0, exec_lo, 0
	s_mov_b32 s30, exec_lo
	v_cmpx_eq_u32_e32 0, v0
	s_cbranch_execz .LBB22_11
; %bb.10:                               ;   in Loop: Header=BB22_8 Depth=1
	v_mov_b32_e32 v0, s27
	global_atomic_smin v16, v0, s[22:23]
.LBB22_11:                              ;   in Loop: Header=BB22_8 Depth=1
	s_or_b32 exec_lo, exec_lo, s30
	v_mov_b32_e32 v2, 0
	v_mov_b32_e32 v0, 0
	;; [unrolled: 1-line block ×4, first 2 shown]
.LBB22_12:                              ;   in Loop: Header=BB22_8 Depth=1
	s_or_b32 exec_lo, exec_lo, s29
	s_mov_b32 s5, -1
	s_mov_b32 s29, 0
	s_cmp_lt_i32 s13, 1
	s_mov_b32 s30, 0
	s_cbranch_scc1 .LBB22_22
; %bb.13:                               ;   in Loop: Header=BB22_8 Depth=1
	s_cmp_eq_u32 s13, 1
	s_mov_b32 s30, -1
	s_cbranch_scc0 .LBB22_21
; %bb.14:                               ;   in Loop: Header=BB22_8 Depth=1
	s_mov_b32 s30, 0
	s_mov_b32 s31, exec_lo
	v_cmpx_le_i32_e64 s6, v10
	s_cbranch_execz .LBB22_20
; %bb.15:                               ;   in Loop: Header=BB22_8 Depth=1
	s_mov_b32 s30, -1
	s_and_saveexec_b32 s5, vcc_lo
	s_xor_b32 s5, exec_lo, s5
	s_cbranch_execz .LBB22_19
; %bb.16:                               ;   in Loop: Header=BB22_8 Depth=1
	s_andn2_b32 vcc_lo, exec_lo, s25
	s_cbranch_vccnz .LBB22_18
; %bb.17:                               ;   in Loop: Header=BB22_8 Depth=1
	v_mul_f64 v[11:12], v[2:3], v[2:3]
	v_fma_f64 v[11:12], v[0:1], v[0:1], v[11:12]
	v_div_scale_f64 v[13:14], null, v[11:12], v[11:12], 1.0
	v_div_scale_f64 v[21:22], vcc_lo, 1.0, v[11:12], 1.0
	v_rcp_f64_e32 v[17:18], v[13:14]
	v_fma_f64 v[19:20], -v[13:14], v[17:18], 1.0
	v_fma_f64 v[17:18], v[17:18], v[19:20], v[17:18]
	v_fma_f64 v[19:20], -v[13:14], v[17:18], 1.0
	v_fma_f64 v[17:18], v[17:18], v[19:20], v[17:18]
	v_mul_f64 v[19:20], v[21:22], v[17:18]
	v_fma_f64 v[13:14], -v[13:14], v[19:20], v[21:22]
	v_div_fmas_f64 v[13:14], v[13:14], v[17:18], v[19:20]
	v_fma_f64 v[17:18], v[2:3], 0, v[0:1]
	v_fma_f64 v[19:20], v[0:1], 0, -v[2:3]
	v_div_fixup_f64 v[13:14], v[13:14], v[11:12], 1.0
	v_mul_f64 v[11:12], v[17:18], v[13:14]
	v_mul_f64 v[13:14], v[19:20], v[13:14]
	v_mov_b32_e32 v17, s28
	ds_write_b128 v17, v[11:14]
.LBB22_18:                              ;   in Loop: Header=BB22_8 Depth=1
	s_xor_b32 s30, exec_lo, -1
.LBB22_19:                              ;   in Loop: Header=BB22_8 Depth=1
	s_or_b32 exec_lo, exec_lo, s5
	s_and_b32 s30, s30, exec_lo
.LBB22_20:                              ;   in Loop: Header=BB22_8 Depth=1
	s_or_b32 exec_lo, exec_lo, s31
.LBB22_21:                              ;   in Loop: Header=BB22_8 Depth=1
	s_mov_b32 s5, 0
.LBB22_22:                              ;   in Loop: Header=BB22_8 Depth=1
	s_and_b32 vcc_lo, exec_lo, s5
	s_mov_b32 s5, 4
	s_cbranch_vccz .LBB22_29
; %bb.23:                               ;   in Loop: Header=BB22_8 Depth=1
	s_cmp_eq_u32 s13, 0
	s_cbranch_scc1 .LBB22_25
; %bb.24:                               ;   in Loop: Header=BB22_8 Depth=1
	s_mov_b32 s30, -1
	s_branch .LBB22_28
.LBB22_25:                              ;   in Loop: Header=BB22_8 Depth=1
	s_mov_b32 s30, 0
	s_mov_b32 s5, exec_lo
	v_cmpx_ge_i32_e64 s6, v10
; %bb.26:                               ;   in Loop: Header=BB22_8 Depth=1
	s_mov_b32 s29, exec_lo
	s_and_b32 s30, s4, exec_lo
; %bb.27:                               ;   in Loop: Header=BB22_8 Depth=1
	s_or_b32 exec_lo, exec_lo, s5
.LBB22_28:                              ;   in Loop: Header=BB22_8 Depth=1
	s_mov_b32 s5, 2
.LBB22_29:                              ;   in Loop: Header=BB22_8 Depth=1
	v_mov_b32_e32 v14, v5
	v_mov_b32_e32 v12, v7
	;; [unrolled: 1-line block ×5, first 2 shown]
	s_and_saveexec_b32 s4, s30
	s_cbranch_execz .LBB22_34
; %bb.30:                               ;   in Loop: Header=BB22_8 Depth=1
	v_ashrrev_i32_e32 v11, 31, v10
	s_mov_b32 s5, exec_lo
	v_lshlrev_b64 v[12:13], 2, v[10:11]
	v_add_co_u32 v12, vcc_lo, s10, v12
	v_add_co_ci_u32_e64 v13, null, s11, v13, vcc_lo
	global_load_dword v14, v[12:13], off glc dlc
	s_waitcnt vmcnt(0)
	v_cmpx_eq_u32_e32 0, v14
	s_cbranch_execz .LBB22_33
; %bb.31:                               ;   in Loop: Header=BB22_8 Depth=1
	s_mov_b32 s30, 0
.LBB22_32:                              ;   Parent Loop BB22_8 Depth=1
                                        ; =>  This Inner Loop Header: Depth=2
	global_load_dword v14, v[12:13], off glc dlc
	s_waitcnt vmcnt(0)
	v_cmp_ne_u32_e32 vcc_lo, 0, v14
	s_or_b32 s30, vcc_lo, s30
	s_andn2_b32 exec_lo, exec_lo, s30
	s_cbranch_execnz .LBB22_32
.LBB22_33:                              ;   in Loop: Header=BB22_8 Depth=1
	s_or_b32 exec_lo, exec_lo, s5
	v_lshlrev_b64 v[10:11], 4, v[10:11]
	s_waitcnt lgkmcnt(0)
	s_waitcnt_vscnt null, 0x0
	buffer_gl1_inv
	buffer_gl0_inv
	s_andn2_b32 s29, s29, exec_lo
	v_add_co_u32 v10, vcc_lo, s8, v10
	v_add_co_ci_u32_e64 v11, null, s9, v11, vcc_lo
	global_load_dwordx4 v[11:14], v[10:11], off
	s_waitcnt vmcnt(0)
	v_fma_f64 v[17:18], -v[0:1], v[11:12], v[6:7]
	v_fma_f64 v[19:20], -v[2:3], v[11:12], v[4:5]
	v_fma_f64 v[11:12], v[2:3], v[13:14], v[17:18]
	v_fma_f64 v[13:14], -v[0:1], v[13:14], v[19:20]
	v_mov_b32_e32 v17, 0
.LBB22_34:                              ;   in Loop: Header=BB22_8 Depth=1
	s_or_b32 exec_lo, exec_lo, s4
	s_and_saveexec_b32 s4, s29
	s_cbranch_execz .LBB22_38
; %bb.35:                               ;   in Loop: Header=BB22_8 Depth=1
	s_andn2_b32 vcc_lo, exec_lo, s25
	s_cbranch_vccnz .LBB22_37
; %bb.36:                               ;   in Loop: Header=BB22_8 Depth=1
	v_mul_f64 v[10:11], v[2:3], v[2:3]
	v_fma_f64 v[10:11], v[0:1], v[0:1], v[10:11]
	v_div_scale_f64 v[12:13], null, v[10:11], v[10:11], 1.0
	v_div_scale_f64 v[21:22], vcc_lo, 1.0, v[10:11], 1.0
	v_rcp_f64_e32 v[17:18], v[12:13]
	v_fma_f64 v[19:20], -v[12:13], v[17:18], 1.0
	v_fma_f64 v[17:18], v[17:18], v[19:20], v[17:18]
	v_fma_f64 v[19:20], -v[12:13], v[17:18], 1.0
	v_fma_f64 v[17:18], v[17:18], v[19:20], v[17:18]
	v_mul_f64 v[19:20], v[21:22], v[17:18]
	v_fma_f64 v[12:13], -v[12:13], v[19:20], v[21:22]
	v_div_fmas_f64 v[12:13], v[12:13], v[17:18], v[19:20]
	v_fma_f64 v[17:18], v[2:3], 0, v[0:1]
	v_fma_f64 v[2:3], v[0:1], 0, -v[2:3]
	v_div_fixup_f64 v[10:11], v[12:13], v[10:11], 1.0
	v_mul_f64 v[0:1], v[17:18], v[10:11]
	v_mul_f64 v[2:3], v[2:3], v[10:11]
	v_mov_b32_e32 v10, s28
	ds_write_b128 v10, v[0:3]
.LBB22_37:                              ;   in Loop: Header=BB22_8 Depth=1
	v_mov_b32_e32 v12, v7
	v_mov_b32_e32 v14, v5
	;; [unrolled: 1-line block ×5, first 2 shown]
.LBB22_38:                              ;   in Loop: Header=BB22_8 Depth=1
	s_or_b32 exec_lo, exec_lo, s4
	v_mov_b32_e32 v4, v13
	v_mov_b32_e32 v6, v11
	;; [unrolled: 1-line block ×4, first 2 shown]
	s_mov_b32 s4, -1
	s_mov_b32 s29, -1
	s_mov_b32 s5, exec_lo
	v_cmpx_gt_i32_e32 4, v17
; %bb.39:                               ;   in Loop: Header=BB22_8 Depth=1
	v_cmp_eq_u32_e32 vcc_lo, 0, v17
	s_orn2_b32 s29, vcc_lo, exec_lo
; %bb.40:                               ;   in Loop: Header=BB22_8 Depth=1
	s_or_b32 exec_lo, exec_lo, s5
	s_and_saveexec_b32 s5, s29
	s_cbranch_execz .LBB22_7
; %bb.41:                               ;   in Loop: Header=BB22_8 Depth=1
	v_add_co_u32 v8, vcc_lo, v8, 32
	v_add_co_ci_u32_e64 v9, null, 0, v9, vcc_lo
	v_cmp_le_i64_e32 vcc_lo, s[20:21], v[8:9]
	s_orn2_b32 s4, vcc_lo, exec_lo
	s_branch .LBB22_7
.LBB22_42:
	s_or_b32 exec_lo, exec_lo, s26
.LBB22_43:
	s_or_b32 exec_lo, exec_lo, s24
	v_mbcnt_lo_u32_b32 v8, -1, 0
	s_cmp_lg_u32 s14, 0
	v_xor_b32_e32 v0, 16, v8
	v_cmp_gt_i32_e32 vcc_lo, 32, v0
	v_cndmask_b32_e32 v0, v8, v0, vcc_lo
	v_lshlrev_b32_e32 v3, 2, v0
	ds_bpermute_b32 v0, v3, v6
	ds_bpermute_b32 v1, v3, v7
	;; [unrolled: 1-line block ×4, first 2 shown]
	s_waitcnt lgkmcnt(2)
	v_add_f64 v[0:1], v[6:7], v[0:1]
	s_waitcnt lgkmcnt(0)
	v_add_f64 v[2:3], v[4:5], v[2:3]
	v_xor_b32_e32 v4, 8, v8
	v_cmp_gt_i32_e32 vcc_lo, 32, v4
	v_cndmask_b32_e32 v4, v8, v4, vcc_lo
	v_lshlrev_b32_e32 v7, 2, v4
	ds_bpermute_b32 v4, v7, v0
	ds_bpermute_b32 v5, v7, v1
	ds_bpermute_b32 v6, v7, v2
	ds_bpermute_b32 v7, v7, v3
	s_waitcnt lgkmcnt(2)
	v_add_f64 v[0:1], v[0:1], v[4:5]
	v_xor_b32_e32 v4, 4, v8
	s_waitcnt lgkmcnt(0)
	v_add_f64 v[2:3], v[2:3], v[6:7]
	v_cmp_gt_i32_e32 vcc_lo, 32, v4
	v_cndmask_b32_e32 v4, v8, v4, vcc_lo
	v_lshlrev_b32_e32 v7, 2, v4
	ds_bpermute_b32 v4, v7, v0
	ds_bpermute_b32 v5, v7, v1
	ds_bpermute_b32 v6, v7, v2
	ds_bpermute_b32 v7, v7, v3
	s_waitcnt lgkmcnt(2)
	v_add_f64 v[0:1], v[0:1], v[4:5]
	v_xor_b32_e32 v4, 2, v8
	s_waitcnt lgkmcnt(0)
	v_add_f64 v[2:3], v[2:3], v[6:7]
	;; [unrolled: 12-line block ×3, first 2 shown]
	v_cmp_gt_i32_e32 vcc_lo, 32, v4
	v_cndmask_b32_e32 v4, v8, v4, vcc_lo
	v_lshlrev_b32_e32 v7, 2, v4
	ds_bpermute_b32 v4, v7, v0
	ds_bpermute_b32 v5, v7, v1
	;; [unrolled: 1-line block ×4, first 2 shown]
	s_waitcnt lgkmcnt(2)
	v_add_f64 v[0:1], v[0:1], v[4:5]
	s_waitcnt lgkmcnt(0)
	v_add_f64 v[2:3], v[2:3], v[6:7]
	s_cbranch_scc1 .LBB22_45
; %bb.44:
	s_lshl_b32 s4, s15, 4
	s_waitcnt_vscnt null, 0x0
	buffer_gl0_inv
	v_mov_b32_e32 v4, s4
	ds_read_b128 v[4:7], v4
	s_waitcnt lgkmcnt(0)
	v_mul_f64 v[8:9], v[6:7], -v[2:3]
	v_mul_f64 v[6:7], v[0:1], v[6:7]
	v_fma_f64 v[0:1], v[0:1], v[4:5], v[8:9]
	v_fma_f64 v[2:3], v[2:3], v[4:5], v[6:7]
.LBB22_45:
	s_mov_b32 s4, exec_lo
	v_cmpx_eq_u32_e32 31, v15
	s_cbranch_execz .LBB22_47
; %bb.46:
	s_lshl_b64 s[4:5], s[6:7], 4
	v_mov_b32_e32 v4, 0
	s_add_u32 s4, s8, s4
	s_addc_u32 s5, s9, s5
	s_lshl_b64 s[6:7], s[6:7], 2
	v_mov_b32_e32 v5, 1
	s_add_u32 s6, s10, s6
	s_addc_u32 s7, s11, s7
	global_store_dwordx4 v4, v[0:3], s[4:5] glc slc
	s_waitcnt_vscnt null, 0x0
	global_store_dword v4, v5, s[6:7]
.LBB22_47:
	s_endpgm
	.section	.rodata,"a",@progbits
	.p2align	6, 0x0
	.amdhsa_kernel _ZN9rocsparseL12csrsv_kernelILj1024ELj32ELb0Eli21rocsparse_complex_numIdEEEvT3_NS_24const_host_device_scalarIT4_EEPKT2_PKS3_PKS5_SD_lPS5_PiSB_iPS3_21rocsparse_index_base_20rocsparse_fill_mode_20rocsparse_diag_type_b
		.amdhsa_group_segment_fixed_size 512
		.amdhsa_private_segment_fixed_size 16
		.amdhsa_kernarg_size 120
		.amdhsa_user_sgpr_count 8
		.amdhsa_user_sgpr_private_segment_buffer 1
		.amdhsa_user_sgpr_dispatch_ptr 0
		.amdhsa_user_sgpr_queue_ptr 0
		.amdhsa_user_sgpr_kernarg_segment_ptr 1
		.amdhsa_user_sgpr_dispatch_id 0
		.amdhsa_user_sgpr_flat_scratch_init 1
		.amdhsa_user_sgpr_private_segment_size 0
		.amdhsa_wavefront_size32 1
		.amdhsa_uses_dynamic_stack 0
		.amdhsa_system_sgpr_private_segment_wavefront_offset 1
		.amdhsa_system_sgpr_workgroup_id_x 1
		.amdhsa_system_sgpr_workgroup_id_y 0
		.amdhsa_system_sgpr_workgroup_id_z 0
		.amdhsa_system_sgpr_workgroup_info 0
		.amdhsa_system_vgpr_workitem_id 0
		.amdhsa_next_free_vgpr 23
		.amdhsa_next_free_sgpr 32
		.amdhsa_reserve_vcc 1
		.amdhsa_reserve_flat_scratch 1
		.amdhsa_float_round_mode_32 0
		.amdhsa_float_round_mode_16_64 0
		.amdhsa_float_denorm_mode_32 3
		.amdhsa_float_denorm_mode_16_64 3
		.amdhsa_dx10_clamp 1
		.amdhsa_ieee_mode 1
		.amdhsa_fp16_overflow 0
		.amdhsa_workgroup_processor_mode 1
		.amdhsa_memory_ordered 1
		.amdhsa_forward_progress 1
		.amdhsa_shared_vgpr_count 0
		.amdhsa_exception_fp_ieee_invalid_op 0
		.amdhsa_exception_fp_denorm_src 0
		.amdhsa_exception_fp_ieee_div_zero 0
		.amdhsa_exception_fp_ieee_overflow 0
		.amdhsa_exception_fp_ieee_underflow 0
		.amdhsa_exception_fp_ieee_inexact 0
		.amdhsa_exception_int_div_zero 0
	.end_amdhsa_kernel
	.section	.text._ZN9rocsparseL12csrsv_kernelILj1024ELj32ELb0Eli21rocsparse_complex_numIdEEEvT3_NS_24const_host_device_scalarIT4_EEPKT2_PKS3_PKS5_SD_lPS5_PiSB_iPS3_21rocsparse_index_base_20rocsparse_fill_mode_20rocsparse_diag_type_b,"axG",@progbits,_ZN9rocsparseL12csrsv_kernelILj1024ELj32ELb0Eli21rocsparse_complex_numIdEEEvT3_NS_24const_host_device_scalarIT4_EEPKT2_PKS3_PKS5_SD_lPS5_PiSB_iPS3_21rocsparse_index_base_20rocsparse_fill_mode_20rocsparse_diag_type_b,comdat
.Lfunc_end22:
	.size	_ZN9rocsparseL12csrsv_kernelILj1024ELj32ELb0Eli21rocsparse_complex_numIdEEEvT3_NS_24const_host_device_scalarIT4_EEPKT2_PKS3_PKS5_SD_lPS5_PiSB_iPS3_21rocsparse_index_base_20rocsparse_fill_mode_20rocsparse_diag_type_b, .Lfunc_end22-_ZN9rocsparseL12csrsv_kernelILj1024ELj32ELb0Eli21rocsparse_complex_numIdEEEvT3_NS_24const_host_device_scalarIT4_EEPKT2_PKS3_PKS5_SD_lPS5_PiSB_iPS3_21rocsparse_index_base_20rocsparse_fill_mode_20rocsparse_diag_type_b
                                        ; -- End function
	.set _ZN9rocsparseL12csrsv_kernelILj1024ELj32ELb0Eli21rocsparse_complex_numIdEEEvT3_NS_24const_host_device_scalarIT4_EEPKT2_PKS3_PKS5_SD_lPS5_PiSB_iPS3_21rocsparse_index_base_20rocsparse_fill_mode_20rocsparse_diag_type_b.num_vgpr, 23
	.set _ZN9rocsparseL12csrsv_kernelILj1024ELj32ELb0Eli21rocsparse_complex_numIdEEEvT3_NS_24const_host_device_scalarIT4_EEPKT2_PKS3_PKS5_SD_lPS5_PiSB_iPS3_21rocsparse_index_base_20rocsparse_fill_mode_20rocsparse_diag_type_b.num_agpr, 0
	.set _ZN9rocsparseL12csrsv_kernelILj1024ELj32ELb0Eli21rocsparse_complex_numIdEEEvT3_NS_24const_host_device_scalarIT4_EEPKT2_PKS3_PKS5_SD_lPS5_PiSB_iPS3_21rocsparse_index_base_20rocsparse_fill_mode_20rocsparse_diag_type_b.numbered_sgpr, 32
	.set _ZN9rocsparseL12csrsv_kernelILj1024ELj32ELb0Eli21rocsparse_complex_numIdEEEvT3_NS_24const_host_device_scalarIT4_EEPKT2_PKS3_PKS5_SD_lPS5_PiSB_iPS3_21rocsparse_index_base_20rocsparse_fill_mode_20rocsparse_diag_type_b.num_named_barrier, 0
	.set _ZN9rocsparseL12csrsv_kernelILj1024ELj32ELb0Eli21rocsparse_complex_numIdEEEvT3_NS_24const_host_device_scalarIT4_EEPKT2_PKS3_PKS5_SD_lPS5_PiSB_iPS3_21rocsparse_index_base_20rocsparse_fill_mode_20rocsparse_diag_type_b.private_seg_size, 16
	.set _ZN9rocsparseL12csrsv_kernelILj1024ELj32ELb0Eli21rocsparse_complex_numIdEEEvT3_NS_24const_host_device_scalarIT4_EEPKT2_PKS3_PKS5_SD_lPS5_PiSB_iPS3_21rocsparse_index_base_20rocsparse_fill_mode_20rocsparse_diag_type_b.uses_vcc, 1
	.set _ZN9rocsparseL12csrsv_kernelILj1024ELj32ELb0Eli21rocsparse_complex_numIdEEEvT3_NS_24const_host_device_scalarIT4_EEPKT2_PKS3_PKS5_SD_lPS5_PiSB_iPS3_21rocsparse_index_base_20rocsparse_fill_mode_20rocsparse_diag_type_b.uses_flat_scratch, 1
	.set _ZN9rocsparseL12csrsv_kernelILj1024ELj32ELb0Eli21rocsparse_complex_numIdEEEvT3_NS_24const_host_device_scalarIT4_EEPKT2_PKS3_PKS5_SD_lPS5_PiSB_iPS3_21rocsparse_index_base_20rocsparse_fill_mode_20rocsparse_diag_type_b.has_dyn_sized_stack, 0
	.set _ZN9rocsparseL12csrsv_kernelILj1024ELj32ELb0Eli21rocsparse_complex_numIdEEEvT3_NS_24const_host_device_scalarIT4_EEPKT2_PKS3_PKS5_SD_lPS5_PiSB_iPS3_21rocsparse_index_base_20rocsparse_fill_mode_20rocsparse_diag_type_b.has_recursion, 0
	.set _ZN9rocsparseL12csrsv_kernelILj1024ELj32ELb0Eli21rocsparse_complex_numIdEEEvT3_NS_24const_host_device_scalarIT4_EEPKT2_PKS3_PKS5_SD_lPS5_PiSB_iPS3_21rocsparse_index_base_20rocsparse_fill_mode_20rocsparse_diag_type_b.has_indirect_call, 0
	.section	.AMDGPU.csdata,"",@progbits
; Kernel info:
; codeLenInByte = 2020
; TotalNumSgprs: 34
; NumVgprs: 23
; ScratchSize: 16
; MemoryBound: 0
; FloatMode: 240
; IeeeMode: 1
; LDSByteSize: 512 bytes/workgroup (compile time only)
; SGPRBlocks: 0
; VGPRBlocks: 2
; NumSGPRsForWavesPerEU: 34
; NumVGPRsForWavesPerEU: 23
; Occupancy: 16
; WaveLimiterHint : 1
; COMPUTE_PGM_RSRC2:SCRATCH_EN: 1
; COMPUTE_PGM_RSRC2:USER_SGPR: 8
; COMPUTE_PGM_RSRC2:TRAP_HANDLER: 0
; COMPUTE_PGM_RSRC2:TGID_X_EN: 1
; COMPUTE_PGM_RSRC2:TGID_Y_EN: 0
; COMPUTE_PGM_RSRC2:TGID_Z_EN: 0
; COMPUTE_PGM_RSRC2:TIDIG_COMP_CNT: 0
	.section	.text._ZN9rocsparseL12csrsv_kernelILj1024ELj64ELb0Eli21rocsparse_complex_numIdEEEvT3_NS_24const_host_device_scalarIT4_EEPKT2_PKS3_PKS5_SD_lPS5_PiSB_iPS3_21rocsparse_index_base_20rocsparse_fill_mode_20rocsparse_diag_type_b,"axG",@progbits,_ZN9rocsparseL12csrsv_kernelILj1024ELj64ELb0Eli21rocsparse_complex_numIdEEEvT3_NS_24const_host_device_scalarIT4_EEPKT2_PKS3_PKS5_SD_lPS5_PiSB_iPS3_21rocsparse_index_base_20rocsparse_fill_mode_20rocsparse_diag_type_b,comdat
	.globl	_ZN9rocsparseL12csrsv_kernelILj1024ELj64ELb0Eli21rocsparse_complex_numIdEEEvT3_NS_24const_host_device_scalarIT4_EEPKT2_PKS3_PKS5_SD_lPS5_PiSB_iPS3_21rocsparse_index_base_20rocsparse_fill_mode_20rocsparse_diag_type_b ; -- Begin function _ZN9rocsparseL12csrsv_kernelILj1024ELj64ELb0Eli21rocsparse_complex_numIdEEEvT3_NS_24const_host_device_scalarIT4_EEPKT2_PKS3_PKS5_SD_lPS5_PiSB_iPS3_21rocsparse_index_base_20rocsparse_fill_mode_20rocsparse_diag_type_b
	.p2align	8
	.type	_ZN9rocsparseL12csrsv_kernelILj1024ELj64ELb0Eli21rocsparse_complex_numIdEEEvT3_NS_24const_host_device_scalarIT4_EEPKT2_PKS3_PKS5_SD_lPS5_PiSB_iPS3_21rocsparse_index_base_20rocsparse_fill_mode_20rocsparse_diag_type_b,@function
_ZN9rocsparseL12csrsv_kernelILj1024ELj64ELb0Eli21rocsparse_complex_numIdEEEvT3_NS_24const_host_device_scalarIT4_EEPKT2_PKS3_PKS5_SD_lPS5_PiSB_iPS3_21rocsparse_index_base_20rocsparse_fill_mode_20rocsparse_diag_type_b: ; @_ZN9rocsparseL12csrsv_kernelILj1024ELj64ELb0Eli21rocsparse_complex_numIdEEEvT3_NS_24const_host_device_scalarIT4_EEPKT2_PKS3_PKS5_SD_lPS5_PiSB_iPS3_21rocsparse_index_base_20rocsparse_fill_mode_20rocsparse_diag_type_b
; %bb.0:
	s_add_u32 s6, s6, s9
	s_addc_u32 s7, s7, 0
	s_setreg_b32 hwreg(HW_REG_FLAT_SCR_LO), s6
	s_setreg_b32 hwreg(HW_REG_FLAT_SCR_HI), s7
	s_clause 0x1
	s_load_dwordx4 s[12:15], s[4:5], 0x68
	s_load_dwordx4 s[16:19], s[4:5], 0x8
	s_add_u32 s0, s0, s9
	s_addc_u32 s1, s1, 0
	s_mov_b64 s[6:7], src_private_base
	s_waitcnt lgkmcnt(0)
	s_bitcmp1_b32 s15, 0
	v_mov_b32_e32 v3, s17
	s_cselect_b32 s6, -1, 0
	v_mov_b32_e32 v4, s16
	s_and_b32 vcc_lo, s6, exec_lo
	s_cselect_b32 s6, 0, s16
	s_cselect_b32 s7, s7, s17
	v_mov_b32_e32 v1, s6
	v_mov_b32_e32 v2, s7
	buffer_store_dword v3, off, s[0:3], 0 offset:4
	buffer_store_dword v4, off, s[0:3], 0
	v_mov_b32_e32 v8, s18
	v_mov_b32_e32 v9, s19
	flat_load_dwordx2 v[1:2], v[1:2]
	s_cbranch_vccnz .LBB23_2
; %bb.1:
	v_mov_b32_e32 v3, s16
	v_mov_b32_e32 v4, s17
	flat_load_dwordx2 v[8:9], v[3:4] offset:8
.LBB23_2:
	s_load_dword s7, s[4:5], 0x0
	v_readfirstlane_b32 s6, v0
	s_lshr_b32 s15, s6, 6
	s_lshl_b32 s6, s8, 4
	s_add_i32 s6, s15, s6
	s_waitcnt lgkmcnt(0)
	s_cmp_ge_i32 s6, s7
	s_cbranch_scc1 .LBB23_47
; %bb.3:
	s_clause 0x1
	s_load_dword s7, s[4:5], 0x58
	s_load_dwordx2 s[8:9], s[4:5], 0x50
	v_mov_b32_e32 v6, 0
	v_mov_b32_e32 v4, 0
	v_and_b32_e32 v15, 63, v0
	v_mov_b32_e32 v7, 0
	v_mov_b32_e32 v5, 0
	s_mov_b32 s20, exec_lo
	s_waitcnt lgkmcnt(0)
	s_add_i32 s6, s6, s7
	s_ashr_i32 s7, s6, 31
	s_lshl_b64 s[6:7], s[6:7], 2
	s_add_u32 s6, s8, s6
	s_addc_u32 s7, s9, s7
	s_load_dword s6, s[6:7], 0x0
	s_load_dwordx2 s[8:9], s[4:5], 0x18
	s_waitcnt lgkmcnt(0)
	s_ashr_i32 s7, s6, 31
	s_lshl_b64 s[10:11], s[6:7], 3
	s_add_u32 s16, s8, s10
	s_addc_u32 s17, s9, s11
	s_load_dwordx4 s[8:11], s[4:5], 0x40
	s_load_dwordx4 s[16:19], s[16:17], 0x0
	v_cmpx_eq_u32_e32 0, v15
	s_cbranch_execz .LBB23_5
; %bb.4:
	s_load_dwordx4 s[24:27], s[4:5], 0x30
	s_waitcnt lgkmcnt(0)
	s_mul_i32 s21, s26, s7
	s_mul_hi_u32 s22, s26, s6
	s_mul_i32 s23, s27, s6
	s_add_i32 s21, s22, s21
	s_mul_i32 s22, s26, s6
	s_add_i32 s23, s21, s23
	s_lshl_b64 s[22:23], s[22:23], 4
	s_add_u32 s22, s24, s22
	s_addc_u32 s23, s25, s23
	s_load_dwordx4 s[24:27], s[22:23], 0x0
	s_waitcnt vmcnt(0) lgkmcnt(0)
	v_mul_f64 v[3:4], s[26:27], -v[8:9]
	v_mul_f64 v[10:11], v[1:2], s[26:27]
	v_fma_f64 v[6:7], v[1:2], s[24:25], v[3:4]
	v_fma_f64 v[4:5], v[8:9], s[24:25], v[10:11]
.LBB23_5:
	s_or_b32 exec_lo, exec_lo, s20
	v_sub_co_u32 v0, s20, v15, s12
	s_waitcnt vmcnt(0)
	v_sub_co_ci_u32_e64 v1, null, 0, 0, s20
	v_mov_b32_e32 v16, 0
	s_waitcnt lgkmcnt(0)
	v_add_co_u32 v8, vcc_lo, s16, v0
	v_add_co_ci_u32_e64 v9, null, s17, v1, vcc_lo
	s_sub_u32 s20, s18, s12
	s_subb_u32 s21, s19, 0
	s_mov_b32 s24, exec_lo
	v_cmpx_gt_i64_e64 s[20:21], v[8:9]
	s_cbranch_execz .LBB23_43
; %bb.6:
	s_clause 0x1
	s_load_dwordx2 s[22:23], s[4:5], 0x60
	s_load_dwordx4 s[16:19], s[4:5], 0x20
	s_cmp_eq_u32 s14, 0
	s_mov_b32 s26, 0
	s_cselect_b32 s25, -1, 0
	s_add_i32 s27, s6, s12
	s_lshl_b32 s28, s15, 4
	s_branch .LBB23_8
.LBB23_7:                               ;   in Loop: Header=BB23_8 Depth=1
	s_or_b32 exec_lo, exec_lo, s5
	s_and_b32 s4, exec_lo, s4
	s_or_b32 s26, s4, s26
	s_andn2_b32 exec_lo, exec_lo, s26
	s_cbranch_execz .LBB23_42
.LBB23_8:                               ; =>This Loop Header: Depth=1
                                        ;     Child Loop BB23_32 Depth 2
	v_lshlrev_b64 v[0:1], 4, v[8:9]
	v_lshlrev_b64 v[10:11], 2, v[8:9]
	s_waitcnt lgkmcnt(0)
	v_add_co_u32 v0, vcc_lo, s18, v0
	v_add_co_ci_u32_e64 v1, null, s19, v1, vcc_lo
	v_add_co_u32 v10, vcc_lo, s16, v10
	v_add_co_ci_u32_e64 v11, null, s17, v11, vcc_lo
	global_load_dwordx4 v[0:3], v[0:1], off slc
	global_load_dword v10, v[10:11], off slc
	s_waitcnt vmcnt(1)
	v_cmp_eq_f64_e64 s4, 0, v[0:1]
	v_cmp_eq_f64_e64 s5, 0, v[2:3]
	s_waitcnt vmcnt(0)
	v_subrev_nc_u32_e32 v10, s12, v10
	v_cmp_eq_u32_e32 vcc_lo, s6, v10
	s_and_b32 s5, s4, s5
	v_cmp_ne_u32_e64 s4, s6, v10
	s_and_b32 s5, s5, vcc_lo
	s_and_b32 s5, s25, s5
	s_and_saveexec_b32 s29, s5
	s_cbranch_execz .LBB23_12
; %bb.9:                                ;   in Loop: Header=BB23_8 Depth=1
	v_mbcnt_lo_u32_b32 v0, exec_lo, 0
	s_mov_b32 s30, exec_lo
	v_cmpx_eq_u32_e32 0, v0
	s_cbranch_execz .LBB23_11
; %bb.10:                               ;   in Loop: Header=BB23_8 Depth=1
	v_mov_b32_e32 v0, s27
	global_atomic_smin v16, v0, s[22:23]
.LBB23_11:                              ;   in Loop: Header=BB23_8 Depth=1
	s_or_b32 exec_lo, exec_lo, s30
	v_mov_b32_e32 v2, 0
	v_mov_b32_e32 v0, 0
	;; [unrolled: 1-line block ×4, first 2 shown]
.LBB23_12:                              ;   in Loop: Header=BB23_8 Depth=1
	s_or_b32 exec_lo, exec_lo, s29
	s_mov_b32 s5, -1
	s_mov_b32 s29, 0
	s_cmp_lt_i32 s13, 1
	s_mov_b32 s30, 0
	s_cbranch_scc1 .LBB23_22
; %bb.13:                               ;   in Loop: Header=BB23_8 Depth=1
	s_cmp_eq_u32 s13, 1
	s_mov_b32 s30, -1
	s_cbranch_scc0 .LBB23_21
; %bb.14:                               ;   in Loop: Header=BB23_8 Depth=1
	s_mov_b32 s30, 0
	s_mov_b32 s31, exec_lo
	v_cmpx_le_i32_e64 s6, v10
	s_cbranch_execz .LBB23_20
; %bb.15:                               ;   in Loop: Header=BB23_8 Depth=1
	s_mov_b32 s30, -1
	s_and_saveexec_b32 s5, vcc_lo
	s_xor_b32 s5, exec_lo, s5
	s_cbranch_execz .LBB23_19
; %bb.16:                               ;   in Loop: Header=BB23_8 Depth=1
	s_andn2_b32 vcc_lo, exec_lo, s25
	s_cbranch_vccnz .LBB23_18
; %bb.17:                               ;   in Loop: Header=BB23_8 Depth=1
	v_mul_f64 v[11:12], v[2:3], v[2:3]
	v_fma_f64 v[11:12], v[0:1], v[0:1], v[11:12]
	v_div_scale_f64 v[13:14], null, v[11:12], v[11:12], 1.0
	v_div_scale_f64 v[21:22], vcc_lo, 1.0, v[11:12], 1.0
	v_rcp_f64_e32 v[17:18], v[13:14]
	v_fma_f64 v[19:20], -v[13:14], v[17:18], 1.0
	v_fma_f64 v[17:18], v[17:18], v[19:20], v[17:18]
	v_fma_f64 v[19:20], -v[13:14], v[17:18], 1.0
	v_fma_f64 v[17:18], v[17:18], v[19:20], v[17:18]
	v_mul_f64 v[19:20], v[21:22], v[17:18]
	v_fma_f64 v[13:14], -v[13:14], v[19:20], v[21:22]
	v_div_fmas_f64 v[13:14], v[13:14], v[17:18], v[19:20]
	v_fma_f64 v[17:18], v[2:3], 0, v[0:1]
	v_fma_f64 v[19:20], v[0:1], 0, -v[2:3]
	v_div_fixup_f64 v[13:14], v[13:14], v[11:12], 1.0
	v_mul_f64 v[11:12], v[17:18], v[13:14]
	v_mul_f64 v[13:14], v[19:20], v[13:14]
	v_mov_b32_e32 v17, s28
	ds_write_b128 v17, v[11:14]
.LBB23_18:                              ;   in Loop: Header=BB23_8 Depth=1
	s_xor_b32 s30, exec_lo, -1
.LBB23_19:                              ;   in Loop: Header=BB23_8 Depth=1
	s_or_b32 exec_lo, exec_lo, s5
	s_and_b32 s30, s30, exec_lo
.LBB23_20:                              ;   in Loop: Header=BB23_8 Depth=1
	s_or_b32 exec_lo, exec_lo, s31
.LBB23_21:                              ;   in Loop: Header=BB23_8 Depth=1
	s_mov_b32 s5, 0
.LBB23_22:                              ;   in Loop: Header=BB23_8 Depth=1
	s_and_b32 vcc_lo, exec_lo, s5
	s_mov_b32 s5, 4
	s_cbranch_vccz .LBB23_29
; %bb.23:                               ;   in Loop: Header=BB23_8 Depth=1
	s_cmp_eq_u32 s13, 0
	s_cbranch_scc1 .LBB23_25
; %bb.24:                               ;   in Loop: Header=BB23_8 Depth=1
	s_mov_b32 s30, -1
	s_branch .LBB23_28
.LBB23_25:                              ;   in Loop: Header=BB23_8 Depth=1
	s_mov_b32 s30, 0
	s_mov_b32 s5, exec_lo
	v_cmpx_ge_i32_e64 s6, v10
; %bb.26:                               ;   in Loop: Header=BB23_8 Depth=1
	s_mov_b32 s29, exec_lo
	s_and_b32 s30, s4, exec_lo
; %bb.27:                               ;   in Loop: Header=BB23_8 Depth=1
	s_or_b32 exec_lo, exec_lo, s5
.LBB23_28:                              ;   in Loop: Header=BB23_8 Depth=1
	s_mov_b32 s5, 2
.LBB23_29:                              ;   in Loop: Header=BB23_8 Depth=1
	v_mov_b32_e32 v14, v5
	v_mov_b32_e32 v12, v7
	;; [unrolled: 1-line block ×5, first 2 shown]
	s_and_saveexec_b32 s4, s30
	s_cbranch_execz .LBB23_34
; %bb.30:                               ;   in Loop: Header=BB23_8 Depth=1
	v_ashrrev_i32_e32 v11, 31, v10
	s_mov_b32 s5, exec_lo
	v_lshlrev_b64 v[12:13], 2, v[10:11]
	v_add_co_u32 v12, vcc_lo, s10, v12
	v_add_co_ci_u32_e64 v13, null, s11, v13, vcc_lo
	global_load_dword v14, v[12:13], off glc dlc
	s_waitcnt vmcnt(0)
	v_cmpx_eq_u32_e32 0, v14
	s_cbranch_execz .LBB23_33
; %bb.31:                               ;   in Loop: Header=BB23_8 Depth=1
	s_mov_b32 s30, 0
.LBB23_32:                              ;   Parent Loop BB23_8 Depth=1
                                        ; =>  This Inner Loop Header: Depth=2
	global_load_dword v14, v[12:13], off glc dlc
	s_waitcnt vmcnt(0)
	v_cmp_ne_u32_e32 vcc_lo, 0, v14
	s_or_b32 s30, vcc_lo, s30
	s_andn2_b32 exec_lo, exec_lo, s30
	s_cbranch_execnz .LBB23_32
.LBB23_33:                              ;   in Loop: Header=BB23_8 Depth=1
	s_or_b32 exec_lo, exec_lo, s5
	v_lshlrev_b64 v[10:11], 4, v[10:11]
	s_waitcnt lgkmcnt(0)
	s_waitcnt_vscnt null, 0x0
	buffer_gl1_inv
	buffer_gl0_inv
	s_andn2_b32 s29, s29, exec_lo
	v_add_co_u32 v10, vcc_lo, s8, v10
	v_add_co_ci_u32_e64 v11, null, s9, v11, vcc_lo
	global_load_dwordx4 v[11:14], v[10:11], off
	s_waitcnt vmcnt(0)
	v_fma_f64 v[17:18], -v[0:1], v[11:12], v[6:7]
	v_fma_f64 v[19:20], -v[2:3], v[11:12], v[4:5]
	v_fma_f64 v[11:12], v[2:3], v[13:14], v[17:18]
	v_fma_f64 v[13:14], -v[0:1], v[13:14], v[19:20]
	v_mov_b32_e32 v17, 0
.LBB23_34:                              ;   in Loop: Header=BB23_8 Depth=1
	s_or_b32 exec_lo, exec_lo, s4
	s_and_saveexec_b32 s4, s29
	s_cbranch_execz .LBB23_38
; %bb.35:                               ;   in Loop: Header=BB23_8 Depth=1
	s_andn2_b32 vcc_lo, exec_lo, s25
	s_cbranch_vccnz .LBB23_37
; %bb.36:                               ;   in Loop: Header=BB23_8 Depth=1
	v_mul_f64 v[10:11], v[2:3], v[2:3]
	v_fma_f64 v[10:11], v[0:1], v[0:1], v[10:11]
	v_div_scale_f64 v[12:13], null, v[10:11], v[10:11], 1.0
	v_div_scale_f64 v[21:22], vcc_lo, 1.0, v[10:11], 1.0
	v_rcp_f64_e32 v[17:18], v[12:13]
	v_fma_f64 v[19:20], -v[12:13], v[17:18], 1.0
	v_fma_f64 v[17:18], v[17:18], v[19:20], v[17:18]
	v_fma_f64 v[19:20], -v[12:13], v[17:18], 1.0
	v_fma_f64 v[17:18], v[17:18], v[19:20], v[17:18]
	v_mul_f64 v[19:20], v[21:22], v[17:18]
	v_fma_f64 v[12:13], -v[12:13], v[19:20], v[21:22]
	v_div_fmas_f64 v[12:13], v[12:13], v[17:18], v[19:20]
	v_fma_f64 v[17:18], v[2:3], 0, v[0:1]
	v_fma_f64 v[2:3], v[0:1], 0, -v[2:3]
	v_div_fixup_f64 v[10:11], v[12:13], v[10:11], 1.0
	v_mul_f64 v[0:1], v[17:18], v[10:11]
	v_mul_f64 v[2:3], v[2:3], v[10:11]
	v_mov_b32_e32 v10, s28
	ds_write_b128 v10, v[0:3]
.LBB23_37:                              ;   in Loop: Header=BB23_8 Depth=1
	v_mov_b32_e32 v12, v7
	v_mov_b32_e32 v14, v5
	;; [unrolled: 1-line block ×5, first 2 shown]
.LBB23_38:                              ;   in Loop: Header=BB23_8 Depth=1
	s_or_b32 exec_lo, exec_lo, s4
	v_mov_b32_e32 v4, v13
	v_mov_b32_e32 v6, v11
	;; [unrolled: 1-line block ×4, first 2 shown]
	s_mov_b32 s4, -1
	s_mov_b32 s29, -1
	s_mov_b32 s5, exec_lo
	v_cmpx_gt_i32_e32 4, v17
; %bb.39:                               ;   in Loop: Header=BB23_8 Depth=1
	v_cmp_eq_u32_e32 vcc_lo, 0, v17
	s_orn2_b32 s29, vcc_lo, exec_lo
; %bb.40:                               ;   in Loop: Header=BB23_8 Depth=1
	s_or_b32 exec_lo, exec_lo, s5
	s_and_saveexec_b32 s5, s29
	s_cbranch_execz .LBB23_7
; %bb.41:                               ;   in Loop: Header=BB23_8 Depth=1
	v_add_co_u32 v8, vcc_lo, v8, 64
	v_add_co_ci_u32_e64 v9, null, 0, v9, vcc_lo
	v_cmp_le_i64_e32 vcc_lo, s[20:21], v[8:9]
	s_orn2_b32 s4, vcc_lo, exec_lo
	s_branch .LBB23_7
.LBB23_42:
	s_or_b32 exec_lo, exec_lo, s26
.LBB23_43:
	s_or_b32 exec_lo, exec_lo, s24
	v_mbcnt_lo_u32_b32 v8, -1, 0
	s_cmp_lg_u32 s14, 0
	v_or_b32_e32 v0, 32, v8
	v_cmp_gt_i32_e32 vcc_lo, 32, v0
	v_cndmask_b32_e32 v0, v8, v0, vcc_lo
	v_lshlrev_b32_e32 v3, 2, v0
	ds_bpermute_b32 v0, v3, v6
	ds_bpermute_b32 v1, v3, v7
	;; [unrolled: 1-line block ×4, first 2 shown]
	s_waitcnt lgkmcnt(2)
	v_add_f64 v[0:1], v[6:7], v[0:1]
	s_waitcnt lgkmcnt(0)
	v_add_f64 v[2:3], v[4:5], v[2:3]
	v_xor_b32_e32 v4, 16, v8
	v_cmp_gt_i32_e32 vcc_lo, 32, v4
	v_cndmask_b32_e32 v4, v8, v4, vcc_lo
	v_lshlrev_b32_e32 v7, 2, v4
	ds_bpermute_b32 v4, v7, v0
	ds_bpermute_b32 v5, v7, v1
	ds_bpermute_b32 v6, v7, v2
	ds_bpermute_b32 v7, v7, v3
	s_waitcnt lgkmcnt(2)
	v_add_f64 v[0:1], v[0:1], v[4:5]
	v_xor_b32_e32 v4, 8, v8
	s_waitcnt lgkmcnt(0)
	v_add_f64 v[2:3], v[2:3], v[6:7]
	v_cmp_gt_i32_e32 vcc_lo, 32, v4
	v_cndmask_b32_e32 v4, v8, v4, vcc_lo
	v_lshlrev_b32_e32 v7, 2, v4
	ds_bpermute_b32 v4, v7, v0
	ds_bpermute_b32 v5, v7, v1
	ds_bpermute_b32 v6, v7, v2
	ds_bpermute_b32 v7, v7, v3
	s_waitcnt lgkmcnt(2)
	v_add_f64 v[0:1], v[0:1], v[4:5]
	v_xor_b32_e32 v4, 4, v8
	s_waitcnt lgkmcnt(0)
	v_add_f64 v[2:3], v[2:3], v[6:7]
	;; [unrolled: 12-line block ×4, first 2 shown]
	v_cmp_gt_i32_e32 vcc_lo, 32, v4
	v_cndmask_b32_e32 v4, v8, v4, vcc_lo
	v_lshlrev_b32_e32 v7, 2, v4
	ds_bpermute_b32 v4, v7, v0
	ds_bpermute_b32 v5, v7, v1
	;; [unrolled: 1-line block ×4, first 2 shown]
	s_waitcnt lgkmcnt(2)
	v_add_f64 v[0:1], v[0:1], v[4:5]
	s_waitcnt lgkmcnt(0)
	v_add_f64 v[2:3], v[2:3], v[6:7]
	s_cbranch_scc1 .LBB23_45
; %bb.44:
	s_lshl_b32 s4, s15, 4
	s_waitcnt_vscnt null, 0x0
	buffer_gl0_inv
	v_mov_b32_e32 v4, s4
	ds_read_b128 v[4:7], v4
	s_waitcnt lgkmcnt(0)
	v_mul_f64 v[8:9], v[6:7], -v[2:3]
	v_mul_f64 v[6:7], v[0:1], v[6:7]
	v_fma_f64 v[0:1], v[0:1], v[4:5], v[8:9]
	v_fma_f64 v[2:3], v[2:3], v[4:5], v[6:7]
.LBB23_45:
	s_mov_b32 s4, exec_lo
	v_cmpx_eq_u32_e32 63, v15
	s_cbranch_execz .LBB23_47
; %bb.46:
	s_lshl_b64 s[4:5], s[6:7], 4
	v_mov_b32_e32 v4, 0
	s_add_u32 s4, s8, s4
	s_addc_u32 s5, s9, s5
	s_lshl_b64 s[6:7], s[6:7], 2
	v_mov_b32_e32 v5, 1
	s_add_u32 s6, s10, s6
	s_addc_u32 s7, s11, s7
	global_store_dwordx4 v4, v[0:3], s[4:5] glc slc
	s_waitcnt_vscnt null, 0x0
	global_store_dword v4, v5, s[6:7]
.LBB23_47:
	s_endpgm
	.section	.rodata,"a",@progbits
	.p2align	6, 0x0
	.amdhsa_kernel _ZN9rocsparseL12csrsv_kernelILj1024ELj64ELb0Eli21rocsparse_complex_numIdEEEvT3_NS_24const_host_device_scalarIT4_EEPKT2_PKS3_PKS5_SD_lPS5_PiSB_iPS3_21rocsparse_index_base_20rocsparse_fill_mode_20rocsparse_diag_type_b
		.amdhsa_group_segment_fixed_size 256
		.amdhsa_private_segment_fixed_size 16
		.amdhsa_kernarg_size 120
		.amdhsa_user_sgpr_count 8
		.amdhsa_user_sgpr_private_segment_buffer 1
		.amdhsa_user_sgpr_dispatch_ptr 0
		.amdhsa_user_sgpr_queue_ptr 0
		.amdhsa_user_sgpr_kernarg_segment_ptr 1
		.amdhsa_user_sgpr_dispatch_id 0
		.amdhsa_user_sgpr_flat_scratch_init 1
		.amdhsa_user_sgpr_private_segment_size 0
		.amdhsa_wavefront_size32 1
		.amdhsa_uses_dynamic_stack 0
		.amdhsa_system_sgpr_private_segment_wavefront_offset 1
		.amdhsa_system_sgpr_workgroup_id_x 1
		.amdhsa_system_sgpr_workgroup_id_y 0
		.amdhsa_system_sgpr_workgroup_id_z 0
		.amdhsa_system_sgpr_workgroup_info 0
		.amdhsa_system_vgpr_workitem_id 0
		.amdhsa_next_free_vgpr 23
		.amdhsa_next_free_sgpr 32
		.amdhsa_reserve_vcc 1
		.amdhsa_reserve_flat_scratch 1
		.amdhsa_float_round_mode_32 0
		.amdhsa_float_round_mode_16_64 0
		.amdhsa_float_denorm_mode_32 3
		.amdhsa_float_denorm_mode_16_64 3
		.amdhsa_dx10_clamp 1
		.amdhsa_ieee_mode 1
		.amdhsa_fp16_overflow 0
		.amdhsa_workgroup_processor_mode 1
		.amdhsa_memory_ordered 1
		.amdhsa_forward_progress 1
		.amdhsa_shared_vgpr_count 0
		.amdhsa_exception_fp_ieee_invalid_op 0
		.amdhsa_exception_fp_denorm_src 0
		.amdhsa_exception_fp_ieee_div_zero 0
		.amdhsa_exception_fp_ieee_overflow 0
		.amdhsa_exception_fp_ieee_underflow 0
		.amdhsa_exception_fp_ieee_inexact 0
		.amdhsa_exception_int_div_zero 0
	.end_amdhsa_kernel
	.section	.text._ZN9rocsparseL12csrsv_kernelILj1024ELj64ELb0Eli21rocsparse_complex_numIdEEEvT3_NS_24const_host_device_scalarIT4_EEPKT2_PKS3_PKS5_SD_lPS5_PiSB_iPS3_21rocsparse_index_base_20rocsparse_fill_mode_20rocsparse_diag_type_b,"axG",@progbits,_ZN9rocsparseL12csrsv_kernelILj1024ELj64ELb0Eli21rocsparse_complex_numIdEEEvT3_NS_24const_host_device_scalarIT4_EEPKT2_PKS3_PKS5_SD_lPS5_PiSB_iPS3_21rocsparse_index_base_20rocsparse_fill_mode_20rocsparse_diag_type_b,comdat
.Lfunc_end23:
	.size	_ZN9rocsparseL12csrsv_kernelILj1024ELj64ELb0Eli21rocsparse_complex_numIdEEEvT3_NS_24const_host_device_scalarIT4_EEPKT2_PKS3_PKS5_SD_lPS5_PiSB_iPS3_21rocsparse_index_base_20rocsparse_fill_mode_20rocsparse_diag_type_b, .Lfunc_end23-_ZN9rocsparseL12csrsv_kernelILj1024ELj64ELb0Eli21rocsparse_complex_numIdEEEvT3_NS_24const_host_device_scalarIT4_EEPKT2_PKS3_PKS5_SD_lPS5_PiSB_iPS3_21rocsparse_index_base_20rocsparse_fill_mode_20rocsparse_diag_type_b
                                        ; -- End function
	.set _ZN9rocsparseL12csrsv_kernelILj1024ELj64ELb0Eli21rocsparse_complex_numIdEEEvT3_NS_24const_host_device_scalarIT4_EEPKT2_PKS3_PKS5_SD_lPS5_PiSB_iPS3_21rocsparse_index_base_20rocsparse_fill_mode_20rocsparse_diag_type_b.num_vgpr, 23
	.set _ZN9rocsparseL12csrsv_kernelILj1024ELj64ELb0Eli21rocsparse_complex_numIdEEEvT3_NS_24const_host_device_scalarIT4_EEPKT2_PKS3_PKS5_SD_lPS5_PiSB_iPS3_21rocsparse_index_base_20rocsparse_fill_mode_20rocsparse_diag_type_b.num_agpr, 0
	.set _ZN9rocsparseL12csrsv_kernelILj1024ELj64ELb0Eli21rocsparse_complex_numIdEEEvT3_NS_24const_host_device_scalarIT4_EEPKT2_PKS3_PKS5_SD_lPS5_PiSB_iPS3_21rocsparse_index_base_20rocsparse_fill_mode_20rocsparse_diag_type_b.numbered_sgpr, 32
	.set _ZN9rocsparseL12csrsv_kernelILj1024ELj64ELb0Eli21rocsparse_complex_numIdEEEvT3_NS_24const_host_device_scalarIT4_EEPKT2_PKS3_PKS5_SD_lPS5_PiSB_iPS3_21rocsparse_index_base_20rocsparse_fill_mode_20rocsparse_diag_type_b.num_named_barrier, 0
	.set _ZN9rocsparseL12csrsv_kernelILj1024ELj64ELb0Eli21rocsparse_complex_numIdEEEvT3_NS_24const_host_device_scalarIT4_EEPKT2_PKS3_PKS5_SD_lPS5_PiSB_iPS3_21rocsparse_index_base_20rocsparse_fill_mode_20rocsparse_diag_type_b.private_seg_size, 16
	.set _ZN9rocsparseL12csrsv_kernelILj1024ELj64ELb0Eli21rocsparse_complex_numIdEEEvT3_NS_24const_host_device_scalarIT4_EEPKT2_PKS3_PKS5_SD_lPS5_PiSB_iPS3_21rocsparse_index_base_20rocsparse_fill_mode_20rocsparse_diag_type_b.uses_vcc, 1
	.set _ZN9rocsparseL12csrsv_kernelILj1024ELj64ELb0Eli21rocsparse_complex_numIdEEEvT3_NS_24const_host_device_scalarIT4_EEPKT2_PKS3_PKS5_SD_lPS5_PiSB_iPS3_21rocsparse_index_base_20rocsparse_fill_mode_20rocsparse_diag_type_b.uses_flat_scratch, 1
	.set _ZN9rocsparseL12csrsv_kernelILj1024ELj64ELb0Eli21rocsparse_complex_numIdEEEvT3_NS_24const_host_device_scalarIT4_EEPKT2_PKS3_PKS5_SD_lPS5_PiSB_iPS3_21rocsparse_index_base_20rocsparse_fill_mode_20rocsparse_diag_type_b.has_dyn_sized_stack, 0
	.set _ZN9rocsparseL12csrsv_kernelILj1024ELj64ELb0Eli21rocsparse_complex_numIdEEEvT3_NS_24const_host_device_scalarIT4_EEPKT2_PKS3_PKS5_SD_lPS5_PiSB_iPS3_21rocsparse_index_base_20rocsparse_fill_mode_20rocsparse_diag_type_b.has_recursion, 0
	.set _ZN9rocsparseL12csrsv_kernelILj1024ELj64ELb0Eli21rocsparse_complex_numIdEEEvT3_NS_24const_host_device_scalarIT4_EEPKT2_PKS3_PKS5_SD_lPS5_PiSB_iPS3_21rocsparse_index_base_20rocsparse_fill_mode_20rocsparse_diag_type_b.has_indirect_call, 0
	.section	.AMDGPU.csdata,"",@progbits
; Kernel info:
; codeLenInByte = 2092
; TotalNumSgprs: 34
; NumVgprs: 23
; ScratchSize: 16
; MemoryBound: 0
; FloatMode: 240
; IeeeMode: 1
; LDSByteSize: 256 bytes/workgroup (compile time only)
; SGPRBlocks: 0
; VGPRBlocks: 2
; NumSGPRsForWavesPerEU: 34
; NumVGPRsForWavesPerEU: 23
; Occupancy: 16
; WaveLimiterHint : 1
; COMPUTE_PGM_RSRC2:SCRATCH_EN: 1
; COMPUTE_PGM_RSRC2:USER_SGPR: 8
; COMPUTE_PGM_RSRC2:TRAP_HANDLER: 0
; COMPUTE_PGM_RSRC2:TGID_X_EN: 1
; COMPUTE_PGM_RSRC2:TGID_Y_EN: 0
; COMPUTE_PGM_RSRC2:TGID_Z_EN: 0
; COMPUTE_PGM_RSRC2:TIDIG_COMP_CNT: 0
	.section	.text._ZN9rocsparseL12csrsv_kernelILj1024ELj64ELb1EllfEEvT3_NS_24const_host_device_scalarIT4_EEPKT2_PKS1_PKS3_SB_lPS3_PiS9_iPS1_21rocsparse_index_base_20rocsparse_fill_mode_20rocsparse_diag_type_b,"axG",@progbits,_ZN9rocsparseL12csrsv_kernelILj1024ELj64ELb1EllfEEvT3_NS_24const_host_device_scalarIT4_EEPKT2_PKS1_PKS3_SB_lPS3_PiS9_iPS1_21rocsparse_index_base_20rocsparse_fill_mode_20rocsparse_diag_type_b,comdat
	.globl	_ZN9rocsparseL12csrsv_kernelILj1024ELj64ELb1EllfEEvT3_NS_24const_host_device_scalarIT4_EEPKT2_PKS1_PKS3_SB_lPS3_PiS9_iPS1_21rocsparse_index_base_20rocsparse_fill_mode_20rocsparse_diag_type_b ; -- Begin function _ZN9rocsparseL12csrsv_kernelILj1024ELj64ELb1EllfEEvT3_NS_24const_host_device_scalarIT4_EEPKT2_PKS1_PKS3_SB_lPS3_PiS9_iPS1_21rocsparse_index_base_20rocsparse_fill_mode_20rocsparse_diag_type_b
	.p2align	8
	.type	_ZN9rocsparseL12csrsv_kernelILj1024ELj64ELb1EllfEEvT3_NS_24const_host_device_scalarIT4_EEPKT2_PKS1_PKS3_SB_lPS3_PiS9_iPS1_21rocsparse_index_base_20rocsparse_fill_mode_20rocsparse_diag_type_b,@function
_ZN9rocsparseL12csrsv_kernelILj1024ELj64ELb1EllfEEvT3_NS_24const_host_device_scalarIT4_EEPKT2_PKS1_PKS3_SB_lPS3_PiS9_iPS1_21rocsparse_index_base_20rocsparse_fill_mode_20rocsparse_diag_type_b: ; @_ZN9rocsparseL12csrsv_kernelILj1024ELj64ELb1EllfEEvT3_NS_24const_host_device_scalarIT4_EEPKT2_PKS1_PKS3_SB_lPS3_PiS9_iPS1_21rocsparse_index_base_20rocsparse_fill_mode_20rocsparse_diag_type_b
; %bb.0:
	s_clause 0x1
	s_load_dwordx4 s[8:11], s[4:5], 0x60
	s_load_dwordx4 s[0:3], s[4:5], 0x0
	s_waitcnt lgkmcnt(0)
	s_bitcmp1_b32 s11, 0
	s_cselect_b32 s7, -1, 0
	s_and_b32 vcc_lo, exec_lo, s7
	s_cbranch_vccnz .LBB24_2
; %bb.1:
	s_load_dword s2, s[2:3], 0x0
.LBB24_2:
	v_readfirstlane_b32 s3, v0
	s_lshl_b32 s6, s6, 4
	s_mov_b32 s7, 0
	s_lshr_b32 s11, s3, 6
	s_add_i32 s6, s11, s6
	v_cmp_le_i64_e64 s0, s[0:1], s[6:7]
	s_and_b32 vcc_lo, exec_lo, s0
	s_cbranch_vccnz .LBB24_49
; %bb.3:
	s_clause 0x1
	s_load_dword s0, s[4:5], 0x50
	s_load_dwordx2 s[12:13], s[4:5], 0x48
	s_lshl_b64 s[6:7], s[6:7], 3
	v_and_b32_e32 v6, 63, v0
	v_mov_b32_e32 v7, 0
	s_waitcnt lgkmcnt(0)
	s_ashr_i32 s1, s0, 31
	s_add_u32 s3, s12, s6
	s_addc_u32 s6, s13, s7
	s_lshl_b64 s[0:1], s[0:1], 3
	s_add_u32 s0, s3, s0
	s_addc_u32 s1, s6, s1
	s_load_dwordx2 s[20:21], s[0:1], 0x0
	s_load_dwordx2 s[0:1], s[4:5], 0x10
	s_waitcnt lgkmcnt(0)
	s_lshl_b64 s[6:7], s[20:21], 3
	s_add_u32 s0, s0, s6
	s_addc_u32 s1, s1, s7
	s_load_dwordx4 s[12:15], s[4:5], 0x38
	s_load_dwordx4 s[16:19], s[0:1], 0x0
	s_mov_b32 s0, exec_lo
	v_cmpx_eq_u32_e32 0, v6
	s_cbranch_execz .LBB24_5
; %bb.4:
	s_load_dwordx4 s[24:27], s[4:5], 0x28
	s_waitcnt lgkmcnt(0)
	s_mul_i32 s1, s20, s27
	s_mul_hi_u32 s3, s20, s26
	s_mul_i32 s6, s21, s26
	s_add_i32 s1, s3, s1
	s_add_i32 s7, s1, s6
	s_mul_i32 s6, s20, s26
	s_lshl_b64 s[6:7], s[6:7], 2
	s_add_u32 s6, s24, s6
	s_addc_u32 s7, s25, s7
	s_load_dword s1, s[6:7], 0x0
	s_waitcnt lgkmcnt(0)
	v_mul_f32_e64 v7, s2, s1
.LBB24_5:
	s_or_b32 exec_lo, exec_lo, s0
	v_sub_co_u32 v0, s0, v6, s8
	v_sub_co_ci_u32_e64 v1, null, 0, 0, s0
	s_waitcnt lgkmcnt(0)
	s_sub_u32 s2, s18, s8
	v_add_co_u32 v0, vcc_lo, s16, v0
	v_add_co_ci_u32_e64 v1, null, s17, v1, vcc_lo
	s_subb_u32 s3, s19, 0
	s_mov_b32 s23, 0
	s_mov_b32 s22, exec_lo
	v_cmpx_gt_i64_e64 s[2:3], v[0:1]
	s_cbranch_execz .LBB24_45
; %bb.6:
	s_clause 0x1
	s_load_dwordx2 s[16:17], s[4:5], 0x58
	s_load_dwordx4 s[4:7], s[4:5], 0x18
	s_cmp_eq_u32 s10, 0
	v_mov_b32_e32 v8, 0
	s_cselect_b32 s24, -1, 0
	s_add_u32 s18, s20, s8
	s_addc_u32 s19, s21, 0
	s_lshl_b32 s25, s11, 2
	s_branch .LBB24_8
.LBB24_7:                               ;   in Loop: Header=BB24_8 Depth=1
	s_or_b32 exec_lo, exec_lo, s1
	s_and_b32 s0, exec_lo, s0
	s_or_b32 s23, s0, s23
	s_andn2_b32 exec_lo, exec_lo, s23
	s_cbranch_execz .LBB24_44
.LBB24_8:                               ; =>This Loop Header: Depth=1
                                        ;     Child Loop BB24_26 Depth 2
                                        ;       Child Loop BB24_27 Depth 3
	v_lshlrev_b64 v[2:3], 3, v[0:1]
	v_lshlrev_b64 v[4:5], 2, v[0:1]
	s_waitcnt lgkmcnt(0)
	v_add_co_u32 v2, vcc_lo, s4, v2
	v_add_co_ci_u32_e64 v3, null, s5, v3, vcc_lo
	v_add_co_u32 v4, vcc_lo, s6, v4
	v_add_co_ci_u32_e64 v5, null, s7, v5, vcc_lo
	global_load_dwordx2 v[2:3], v[2:3], off slc
	global_load_dword v9, v[4:5], off slc
	s_waitcnt vmcnt(1)
	v_sub_co_u32 v2, vcc_lo, v2, s8
	v_subrev_co_ci_u32_e64 v3, null, 0, v3, vcc_lo
	s_waitcnt vmcnt(0)
	v_cmp_eq_f32_e64 s1, 0, v9
	v_cmp_eq_u64_e32 vcc_lo, s[20:21], v[2:3]
	v_cmp_ne_u64_e64 s0, s[20:21], v[2:3]
	s_and_b32 s26, s24, vcc_lo
	s_and_b32 s1, s1, s26
	s_and_saveexec_b32 s26, s1
	s_cbranch_execz .LBB24_12
; %bb.9:                                ;   in Loop: Header=BB24_8 Depth=1
	v_mbcnt_lo_u32_b32 v4, exec_lo, 0
	s_mov_b32 s27, exec_lo
	v_cmpx_eq_u32_e32 0, v4
	s_cbranch_execz .LBB24_11
; %bb.10:                               ;   in Loop: Header=BB24_8 Depth=1
	v_mov_b32_e32 v4, s18
	v_mov_b32_e32 v5, s19
	global_atomic_umin_x2 v8, v[4:5], s[16:17]
.LBB24_11:                              ;   in Loop: Header=BB24_8 Depth=1
	s_or_b32 exec_lo, exec_lo, s27
	v_mov_b32_e32 v9, 1.0
.LBB24_12:                              ;   in Loop: Header=BB24_8 Depth=1
	s_or_b32 exec_lo, exec_lo, s26
	s_mov_b32 s1, -1
	s_mov_b32 s26, 0
	s_cmp_lt_i32 s9, 1
	s_mov_b32 s27, 0
	s_cbranch_scc1 .LBB24_28
; %bb.13:                               ;   in Loop: Header=BB24_8 Depth=1
	s_cmp_eq_u32 s9, 1
	s_mov_b32 s27, -1
	s_cbranch_scc0 .LBB24_21
; %bb.14:                               ;   in Loop: Header=BB24_8 Depth=1
	s_mov_b32 s27, 0
	s_mov_b32 s28, exec_lo
	v_cmpx_le_i64_e64 s[20:21], v[2:3]
	s_cbranch_execz .LBB24_20
; %bb.15:                               ;   in Loop: Header=BB24_8 Depth=1
	s_mov_b32 s27, -1
	s_and_saveexec_b32 s1, vcc_lo
	s_xor_b32 s1, exec_lo, s1
	s_cbranch_execz .LBB24_19
; %bb.16:                               ;   in Loop: Header=BB24_8 Depth=1
	s_andn2_b32 vcc_lo, exec_lo, s24
	s_cbranch_vccnz .LBB24_18
; %bb.17:                               ;   in Loop: Header=BB24_8 Depth=1
	v_div_scale_f32 v4, null, v9, v9, 1.0
	v_div_scale_f32 v11, vcc_lo, 1.0, v9, 1.0
	v_rcp_f32_e32 v5, v4
	v_fma_f32 v10, -v4, v5, 1.0
	v_fmac_f32_e32 v5, v10, v5
	v_mul_f32_e32 v10, v11, v5
	v_fma_f32 v12, -v4, v10, v11
	v_fmac_f32_e32 v10, v12, v5
	v_fma_f32 v4, -v4, v10, v11
	v_div_fmas_f32 v4, v4, v5, v10
	v_mov_b32_e32 v5, s25
	v_div_fixup_f32 v4, v4, v9, 1.0
	ds_write_b32 v5, v4
.LBB24_18:                              ;   in Loop: Header=BB24_8 Depth=1
	s_xor_b32 s27, exec_lo, -1
.LBB24_19:                              ;   in Loop: Header=BB24_8 Depth=1
	s_or_b32 exec_lo, exec_lo, s1
	s_and_b32 s27, s27, exec_lo
.LBB24_20:                              ;   in Loop: Header=BB24_8 Depth=1
	s_or_b32 exec_lo, exec_lo, s28
.LBB24_21:                              ;   in Loop: Header=BB24_8 Depth=1
	s_mov_b32 s1, 4
.LBB24_22:                              ;   in Loop: Header=BB24_8 Depth=1
	v_mov_b32_e32 v4, s1
	v_mov_b32_e32 v5, v7
	s_and_saveexec_b32 s0, s27
	s_cbranch_execz .LBB24_36
.LBB24_23:                              ;   in Loop: Header=BB24_8 Depth=1
	v_lshlrev_b64 v[2:3], 2, v[2:3]
	s_mov_b32 s1, exec_lo
	v_add_co_u32 v4, vcc_lo, s14, v2
	v_add_co_ci_u32_e64 v5, null, s15, v3, vcc_lo
	global_load_dword v10, v[4:5], off glc dlc
	s_waitcnt vmcnt(0)
	v_cmpx_eq_u32_e32 0, v10
	s_cbranch_execz .LBB24_31
; %bb.24:                               ;   in Loop: Header=BB24_8 Depth=1
	s_mov_b32 s27, 0
	s_mov_b32 s28, 0
	s_branch .LBB24_26
	.p2align	6
.LBB24_25:                              ;   in Loop: Header=BB24_26 Depth=2
	global_load_dword v10, v[4:5], off glc dlc
	s_cmpk_lt_u32 s28, 0xf43
	s_cselect_b32 s29, -1, 0
	s_cmp_lg_u32 s29, 0
	s_addc_u32 s28, s28, 0
	s_waitcnt vmcnt(0)
	v_cmp_ne_u32_e32 vcc_lo, 0, v10
	s_or_b32 s27, vcc_lo, s27
	s_andn2_b32 exec_lo, exec_lo, s27
	s_cbranch_execz .LBB24_31
.LBB24_26:                              ;   Parent Loop BB24_8 Depth=1
                                        ; =>  This Loop Header: Depth=2
                                        ;       Child Loop BB24_27 Depth 3
	s_cmp_eq_u32 s28, 0
	s_mov_b32 s29, s28
	s_cbranch_scc1 .LBB24_25
.LBB24_27:                              ;   Parent Loop BB24_8 Depth=1
                                        ;     Parent Loop BB24_26 Depth=2
                                        ; =>    This Inner Loop Header: Depth=3
	s_add_i32 s29, s29, -1
	s_sleep 1
	s_cmp_eq_u32 s29, 0
	s_cbranch_scc0 .LBB24_27
	s_branch .LBB24_25
.LBB24_28:                              ;   in Loop: Header=BB24_8 Depth=1
	s_and_b32 vcc_lo, exec_lo, s1
	s_mov_b32 s1, 4
	s_cbranch_vccz .LBB24_22
; %bb.29:                               ;   in Loop: Header=BB24_8 Depth=1
	s_cmp_eq_u32 s9, 0
	s_cbranch_scc1 .LBB24_32
; %bb.30:                               ;   in Loop: Header=BB24_8 Depth=1
	s_mov_b32 s27, -1
	s_branch .LBB24_35
.LBB24_31:                              ;   in Loop: Header=BB24_8 Depth=1
	s_or_b32 exec_lo, exec_lo, s1
	v_add_co_u32 v2, vcc_lo, s12, v2
	v_add_co_ci_u32_e64 v3, null, s13, v3, vcc_lo
	s_waitcnt lgkmcnt(0)
	s_waitcnt_vscnt null, 0x0
	buffer_gl1_inv
	buffer_gl0_inv
	v_mov_b32_e32 v4, 0
	s_andn2_b32 s26, s26, exec_lo
	global_load_dword v2, v[2:3], off
	s_waitcnt vmcnt(0)
	v_fma_f32 v5, -v9, v2, v7
	s_or_b32 exec_lo, exec_lo, s0
	s_and_saveexec_b32 s0, s26
	s_cbranch_execz .LBB24_40
	s_branch .LBB24_37
.LBB24_32:                              ;   in Loop: Header=BB24_8 Depth=1
	s_mov_b32 s27, 0
	s_mov_b32 s1, exec_lo
	v_cmpx_ge_i64_e64 s[20:21], v[2:3]
; %bb.33:                               ;   in Loop: Header=BB24_8 Depth=1
	s_mov_b32 s26, exec_lo
	s_and_b32 s27, s0, exec_lo
; %bb.34:                               ;   in Loop: Header=BB24_8 Depth=1
	s_or_b32 exec_lo, exec_lo, s1
.LBB24_35:                              ;   in Loop: Header=BB24_8 Depth=1
	s_mov_b32 s1, 2
	v_mov_b32_e32 v4, s1
	v_mov_b32_e32 v5, v7
	s_and_saveexec_b32 s0, s27
	s_cbranch_execnz .LBB24_23
.LBB24_36:                              ;   in Loop: Header=BB24_8 Depth=1
	s_or_b32 exec_lo, exec_lo, s0
	s_and_saveexec_b32 s0, s26
	s_cbranch_execz .LBB24_40
.LBB24_37:                              ;   in Loop: Header=BB24_8 Depth=1
	s_andn2_b32 vcc_lo, exec_lo, s24
	s_cbranch_vccnz .LBB24_39
; %bb.38:                               ;   in Loop: Header=BB24_8 Depth=1
	v_div_scale_f32 v2, null, v9, v9, 1.0
	v_div_scale_f32 v5, vcc_lo, 1.0, v9, 1.0
	v_rcp_f32_e32 v3, v2
	v_fma_f32 v4, -v2, v3, 1.0
	v_fmac_f32_e32 v3, v4, v3
	v_mul_f32_e32 v4, v5, v3
	v_fma_f32 v10, -v2, v4, v5
	v_fmac_f32_e32 v4, v10, v3
	v_fma_f32 v2, -v2, v4, v5
	v_div_fmas_f32 v2, v2, v3, v4
	v_mov_b32_e32 v3, s25
	v_div_fixup_f32 v2, v2, v9, 1.0
	ds_write_b32 v3, v2
.LBB24_39:                              ;   in Loop: Header=BB24_8 Depth=1
	v_mov_b32_e32 v4, 2
	v_mov_b32_e32 v5, v7
.LBB24_40:                              ;   in Loop: Header=BB24_8 Depth=1
	s_or_b32 exec_lo, exec_lo, s0
	v_mov_b32_e32 v7, v5
	s_mov_b32 s0, -1
	s_mov_b32 s26, -1
	s_mov_b32 s1, exec_lo
	v_cmpx_gt_i32_e32 4, v4
; %bb.41:                               ;   in Loop: Header=BB24_8 Depth=1
	v_cmp_eq_u32_e32 vcc_lo, 0, v4
	s_orn2_b32 s26, vcc_lo, exec_lo
; %bb.42:                               ;   in Loop: Header=BB24_8 Depth=1
	s_or_b32 exec_lo, exec_lo, s1
	s_and_saveexec_b32 s1, s26
	s_cbranch_execz .LBB24_7
; %bb.43:                               ;   in Loop: Header=BB24_8 Depth=1
	v_add_co_u32 v0, vcc_lo, v0, 64
	v_add_co_ci_u32_e64 v1, null, 0, v1, vcc_lo
	v_cmp_le_i64_e32 vcc_lo, s[2:3], v[0:1]
	s_orn2_b32 s0, vcc_lo, exec_lo
	s_branch .LBB24_7
.LBB24_44:
	s_or_b32 exec_lo, exec_lo, s23
.LBB24_45:
	s_or_b32 exec_lo, exec_lo, s22
	v_mbcnt_lo_u32_b32 v0, -1, 0
	s_cmp_lg_u32 s10, 0
	v_or_b32_e32 v1, 32, v0
	v_xor_b32_e32 v2, 16, v0
	v_xor_b32_e32 v3, 8, v0
	v_cmp_gt_i32_e32 vcc_lo, 32, v1
	v_cndmask_b32_e32 v1, v0, v1, vcc_lo
	v_cmp_gt_i32_e32 vcc_lo, 32, v2
	v_lshlrev_b32_e32 v1, 2, v1
	v_cndmask_b32_e32 v2, v0, v2, vcc_lo
	v_cmp_gt_i32_e32 vcc_lo, 32, v3
	ds_bpermute_b32 v1, v1, v7
	v_lshlrev_b32_e32 v2, 2, v2
	v_cndmask_b32_e32 v3, v0, v3, vcc_lo
	v_lshlrev_b32_e32 v3, 2, v3
	s_waitcnt lgkmcnt(0)
	v_add_f32_e32 v1, v7, v1
	ds_bpermute_b32 v2, v2, v1
	s_waitcnt lgkmcnt(0)
	v_add_f32_e32 v1, v1, v2
	ds_bpermute_b32 v2, v3, v1
	v_xor_b32_e32 v3, 4, v0
	v_cmp_gt_i32_e32 vcc_lo, 32, v3
	v_cndmask_b32_e32 v3, v0, v3, vcc_lo
	v_lshlrev_b32_e32 v3, 2, v3
	s_waitcnt lgkmcnt(0)
	v_add_f32_e32 v1, v1, v2
	ds_bpermute_b32 v2, v3, v1
	v_xor_b32_e32 v3, 2, v0
	v_cmp_gt_i32_e32 vcc_lo, 32, v3
	v_cndmask_b32_e32 v3, v0, v3, vcc_lo
	v_lshlrev_b32_e32 v3, 2, v3
	;; [unrolled: 7-line block ×3, first 2 shown]
	s_waitcnt lgkmcnt(0)
	v_add_f32_e32 v1, v1, v2
	ds_bpermute_b32 v0, v0, v1
	s_waitcnt lgkmcnt(0)
	v_add_f32_e32 v0, v1, v0
	s_cbranch_scc1 .LBB24_47
; %bb.46:
	s_lshl_b32 s0, s11, 2
	s_waitcnt_vscnt null, 0x0
	buffer_gl0_inv
	v_mov_b32_e32 v1, s0
	ds_read_b32 v1, v1
	s_waitcnt lgkmcnt(0)
	v_mul_f32_e32 v0, v0, v1
.LBB24_47:
	s_mov_b32 s0, exec_lo
	v_cmpx_eq_u32_e32 63, v6
	s_cbranch_execz .LBB24_49
; %bb.48:
	s_lshl_b64 s[0:1], s[20:21], 2
	v_mov_b32_e32 v1, 0
	s_add_u32 s2, s12, s0
	v_mov_b32_e32 v2, 1
	s_addc_u32 s3, s13, s1
	s_add_u32 s0, s14, s0
	s_addc_u32 s1, s15, s1
	global_store_dword v1, v0, s[2:3] glc slc
	s_waitcnt_vscnt null, 0x0
	global_store_dword v1, v2, s[0:1]
.LBB24_49:
	s_endpgm
	.section	.rodata,"a",@progbits
	.p2align	6, 0x0
	.amdhsa_kernel _ZN9rocsparseL12csrsv_kernelILj1024ELj64ELb1EllfEEvT3_NS_24const_host_device_scalarIT4_EEPKT2_PKS1_PKS3_SB_lPS3_PiS9_iPS1_21rocsparse_index_base_20rocsparse_fill_mode_20rocsparse_diag_type_b
		.amdhsa_group_segment_fixed_size 64
		.amdhsa_private_segment_fixed_size 0
		.amdhsa_kernarg_size 112
		.amdhsa_user_sgpr_count 6
		.amdhsa_user_sgpr_private_segment_buffer 1
		.amdhsa_user_sgpr_dispatch_ptr 0
		.amdhsa_user_sgpr_queue_ptr 0
		.amdhsa_user_sgpr_kernarg_segment_ptr 1
		.amdhsa_user_sgpr_dispatch_id 0
		.amdhsa_user_sgpr_flat_scratch_init 0
		.amdhsa_user_sgpr_private_segment_size 0
		.amdhsa_wavefront_size32 1
		.amdhsa_uses_dynamic_stack 0
		.amdhsa_system_sgpr_private_segment_wavefront_offset 0
		.amdhsa_system_sgpr_workgroup_id_x 1
		.amdhsa_system_sgpr_workgroup_id_y 0
		.amdhsa_system_sgpr_workgroup_id_z 0
		.amdhsa_system_sgpr_workgroup_info 0
		.amdhsa_system_vgpr_workitem_id 0
		.amdhsa_next_free_vgpr 13
		.amdhsa_next_free_sgpr 30
		.amdhsa_reserve_vcc 1
		.amdhsa_reserve_flat_scratch 0
		.amdhsa_float_round_mode_32 0
		.amdhsa_float_round_mode_16_64 0
		.amdhsa_float_denorm_mode_32 3
		.amdhsa_float_denorm_mode_16_64 3
		.amdhsa_dx10_clamp 1
		.amdhsa_ieee_mode 1
		.amdhsa_fp16_overflow 0
		.amdhsa_workgroup_processor_mode 1
		.amdhsa_memory_ordered 1
		.amdhsa_forward_progress 1
		.amdhsa_shared_vgpr_count 0
		.amdhsa_exception_fp_ieee_invalid_op 0
		.amdhsa_exception_fp_denorm_src 0
		.amdhsa_exception_fp_ieee_div_zero 0
		.amdhsa_exception_fp_ieee_overflow 0
		.amdhsa_exception_fp_ieee_underflow 0
		.amdhsa_exception_fp_ieee_inexact 0
		.amdhsa_exception_int_div_zero 0
	.end_amdhsa_kernel
	.section	.text._ZN9rocsparseL12csrsv_kernelILj1024ELj64ELb1EllfEEvT3_NS_24const_host_device_scalarIT4_EEPKT2_PKS1_PKS3_SB_lPS3_PiS9_iPS1_21rocsparse_index_base_20rocsparse_fill_mode_20rocsparse_diag_type_b,"axG",@progbits,_ZN9rocsparseL12csrsv_kernelILj1024ELj64ELb1EllfEEvT3_NS_24const_host_device_scalarIT4_EEPKT2_PKS1_PKS3_SB_lPS3_PiS9_iPS1_21rocsparse_index_base_20rocsparse_fill_mode_20rocsparse_diag_type_b,comdat
.Lfunc_end24:
	.size	_ZN9rocsparseL12csrsv_kernelILj1024ELj64ELb1EllfEEvT3_NS_24const_host_device_scalarIT4_EEPKT2_PKS1_PKS3_SB_lPS3_PiS9_iPS1_21rocsparse_index_base_20rocsparse_fill_mode_20rocsparse_diag_type_b, .Lfunc_end24-_ZN9rocsparseL12csrsv_kernelILj1024ELj64ELb1EllfEEvT3_NS_24const_host_device_scalarIT4_EEPKT2_PKS1_PKS3_SB_lPS3_PiS9_iPS1_21rocsparse_index_base_20rocsparse_fill_mode_20rocsparse_diag_type_b
                                        ; -- End function
	.set _ZN9rocsparseL12csrsv_kernelILj1024ELj64ELb1EllfEEvT3_NS_24const_host_device_scalarIT4_EEPKT2_PKS1_PKS3_SB_lPS3_PiS9_iPS1_21rocsparse_index_base_20rocsparse_fill_mode_20rocsparse_diag_type_b.num_vgpr, 13
	.set _ZN9rocsparseL12csrsv_kernelILj1024ELj64ELb1EllfEEvT3_NS_24const_host_device_scalarIT4_EEPKT2_PKS1_PKS3_SB_lPS3_PiS9_iPS1_21rocsparse_index_base_20rocsparse_fill_mode_20rocsparse_diag_type_b.num_agpr, 0
	.set _ZN9rocsparseL12csrsv_kernelILj1024ELj64ELb1EllfEEvT3_NS_24const_host_device_scalarIT4_EEPKT2_PKS1_PKS3_SB_lPS3_PiS9_iPS1_21rocsparse_index_base_20rocsparse_fill_mode_20rocsparse_diag_type_b.numbered_sgpr, 30
	.set _ZN9rocsparseL12csrsv_kernelILj1024ELj64ELb1EllfEEvT3_NS_24const_host_device_scalarIT4_EEPKT2_PKS1_PKS3_SB_lPS3_PiS9_iPS1_21rocsparse_index_base_20rocsparse_fill_mode_20rocsparse_diag_type_b.num_named_barrier, 0
	.set _ZN9rocsparseL12csrsv_kernelILj1024ELj64ELb1EllfEEvT3_NS_24const_host_device_scalarIT4_EEPKT2_PKS1_PKS3_SB_lPS3_PiS9_iPS1_21rocsparse_index_base_20rocsparse_fill_mode_20rocsparse_diag_type_b.private_seg_size, 0
	.set _ZN9rocsparseL12csrsv_kernelILj1024ELj64ELb1EllfEEvT3_NS_24const_host_device_scalarIT4_EEPKT2_PKS1_PKS3_SB_lPS3_PiS9_iPS1_21rocsparse_index_base_20rocsparse_fill_mode_20rocsparse_diag_type_b.uses_vcc, 1
	.set _ZN9rocsparseL12csrsv_kernelILj1024ELj64ELb1EllfEEvT3_NS_24const_host_device_scalarIT4_EEPKT2_PKS1_PKS3_SB_lPS3_PiS9_iPS1_21rocsparse_index_base_20rocsparse_fill_mode_20rocsparse_diag_type_b.uses_flat_scratch, 0
	.set _ZN9rocsparseL12csrsv_kernelILj1024ELj64ELb1EllfEEvT3_NS_24const_host_device_scalarIT4_EEPKT2_PKS1_PKS3_SB_lPS3_PiS9_iPS1_21rocsparse_index_base_20rocsparse_fill_mode_20rocsparse_diag_type_b.has_dyn_sized_stack, 0
	.set _ZN9rocsparseL12csrsv_kernelILj1024ELj64ELb1EllfEEvT3_NS_24const_host_device_scalarIT4_EEPKT2_PKS1_PKS3_SB_lPS3_PiS9_iPS1_21rocsparse_index_base_20rocsparse_fill_mode_20rocsparse_diag_type_b.has_recursion, 0
	.set _ZN9rocsparseL12csrsv_kernelILj1024ELj64ELb1EllfEEvT3_NS_24const_host_device_scalarIT4_EEPKT2_PKS1_PKS3_SB_lPS3_PiS9_iPS1_21rocsparse_index_base_20rocsparse_fill_mode_20rocsparse_diag_type_b.has_indirect_call, 0
	.section	.AMDGPU.csdata,"",@progbits
; Kernel info:
; codeLenInByte = 1636
; TotalNumSgprs: 32
; NumVgprs: 13
; ScratchSize: 0
; MemoryBound: 0
; FloatMode: 240
; IeeeMode: 1
; LDSByteSize: 64 bytes/workgroup (compile time only)
; SGPRBlocks: 0
; VGPRBlocks: 1
; NumSGPRsForWavesPerEU: 32
; NumVGPRsForWavesPerEU: 13
; Occupancy: 16
; WaveLimiterHint : 1
; COMPUTE_PGM_RSRC2:SCRATCH_EN: 0
; COMPUTE_PGM_RSRC2:USER_SGPR: 6
; COMPUTE_PGM_RSRC2:TRAP_HANDLER: 0
; COMPUTE_PGM_RSRC2:TGID_X_EN: 1
; COMPUTE_PGM_RSRC2:TGID_Y_EN: 0
; COMPUTE_PGM_RSRC2:TGID_Z_EN: 0
; COMPUTE_PGM_RSRC2:TIDIG_COMP_CNT: 0
	.section	.text._ZN9rocsparseL12csrsv_kernelILj1024ELj32ELb0EllfEEvT3_NS_24const_host_device_scalarIT4_EEPKT2_PKS1_PKS3_SB_lPS3_PiS9_iPS1_21rocsparse_index_base_20rocsparse_fill_mode_20rocsparse_diag_type_b,"axG",@progbits,_ZN9rocsparseL12csrsv_kernelILj1024ELj32ELb0EllfEEvT3_NS_24const_host_device_scalarIT4_EEPKT2_PKS1_PKS3_SB_lPS3_PiS9_iPS1_21rocsparse_index_base_20rocsparse_fill_mode_20rocsparse_diag_type_b,comdat
	.globl	_ZN9rocsparseL12csrsv_kernelILj1024ELj32ELb0EllfEEvT3_NS_24const_host_device_scalarIT4_EEPKT2_PKS1_PKS3_SB_lPS3_PiS9_iPS1_21rocsparse_index_base_20rocsparse_fill_mode_20rocsparse_diag_type_b ; -- Begin function _ZN9rocsparseL12csrsv_kernelILj1024ELj32ELb0EllfEEvT3_NS_24const_host_device_scalarIT4_EEPKT2_PKS1_PKS3_SB_lPS3_PiS9_iPS1_21rocsparse_index_base_20rocsparse_fill_mode_20rocsparse_diag_type_b
	.p2align	8
	.type	_ZN9rocsparseL12csrsv_kernelILj1024ELj32ELb0EllfEEvT3_NS_24const_host_device_scalarIT4_EEPKT2_PKS1_PKS3_SB_lPS3_PiS9_iPS1_21rocsparse_index_base_20rocsparse_fill_mode_20rocsparse_diag_type_b,@function
_ZN9rocsparseL12csrsv_kernelILj1024ELj32ELb0EllfEEvT3_NS_24const_host_device_scalarIT4_EEPKT2_PKS1_PKS3_SB_lPS3_PiS9_iPS1_21rocsparse_index_base_20rocsparse_fill_mode_20rocsparse_diag_type_b: ; @_ZN9rocsparseL12csrsv_kernelILj1024ELj32ELb0EllfEEvT3_NS_24const_host_device_scalarIT4_EEPKT2_PKS1_PKS3_SB_lPS3_PiS9_iPS1_21rocsparse_index_base_20rocsparse_fill_mode_20rocsparse_diag_type_b
; %bb.0:
	s_clause 0x1
	s_load_dwordx4 s[8:11], s[4:5], 0x60
	s_load_dwordx4 s[0:3], s[4:5], 0x0
	s_waitcnt lgkmcnt(0)
	s_bitcmp1_b32 s11, 0
	s_cselect_b32 s7, -1, 0
	s_and_b32 vcc_lo, exec_lo, s7
	s_cbranch_vccnz .LBB25_2
; %bb.1:
	s_load_dword s2, s[2:3], 0x0
.LBB25_2:
	v_readfirstlane_b32 s3, v0
	s_lshl_b32 s6, s6, 5
	s_mov_b32 s7, 0
	s_lshr_b32 s11, s3, 5
	s_add_i32 s6, s11, s6
	v_cmp_le_i64_e64 s0, s[0:1], s[6:7]
	s_and_b32 vcc_lo, exec_lo, s0
	s_cbranch_vccnz .LBB25_47
; %bb.3:
	s_clause 0x1
	s_load_dword s0, s[4:5], 0x50
	s_load_dwordx2 s[12:13], s[4:5], 0x48
	s_lshl_b64 s[6:7], s[6:7], 3
	v_and_b32_e32 v6, 31, v0
	v_mov_b32_e32 v7, 0
	s_waitcnt lgkmcnt(0)
	s_ashr_i32 s1, s0, 31
	s_add_u32 s3, s12, s6
	s_addc_u32 s6, s13, s7
	s_lshl_b64 s[0:1], s[0:1], 3
	s_add_u32 s0, s3, s0
	s_addc_u32 s1, s6, s1
	s_load_dwordx2 s[20:21], s[0:1], 0x0
	s_load_dwordx2 s[0:1], s[4:5], 0x10
	s_waitcnt lgkmcnt(0)
	s_lshl_b64 s[6:7], s[20:21], 3
	s_add_u32 s0, s0, s6
	s_addc_u32 s1, s1, s7
	s_load_dwordx4 s[12:15], s[4:5], 0x38
	s_load_dwordx4 s[16:19], s[0:1], 0x0
	s_mov_b32 s0, exec_lo
	v_cmpx_eq_u32_e32 0, v6
	s_cbranch_execz .LBB25_5
; %bb.4:
	s_load_dwordx4 s[24:27], s[4:5], 0x28
	s_waitcnt lgkmcnt(0)
	s_mul_i32 s1, s20, s27
	s_mul_hi_u32 s3, s20, s26
	s_mul_i32 s6, s21, s26
	s_add_i32 s1, s3, s1
	s_add_i32 s7, s1, s6
	s_mul_i32 s6, s20, s26
	s_lshl_b64 s[6:7], s[6:7], 2
	s_add_u32 s6, s24, s6
	s_addc_u32 s7, s25, s7
	s_load_dword s1, s[6:7], 0x0
	s_waitcnt lgkmcnt(0)
	v_mul_f32_e64 v7, s2, s1
.LBB25_5:
	s_or_b32 exec_lo, exec_lo, s0
	v_sub_co_u32 v0, s0, v6, s8
	v_sub_co_ci_u32_e64 v1, null, 0, 0, s0
	s_waitcnt lgkmcnt(0)
	s_sub_u32 s2, s18, s8
	v_add_co_u32 v0, vcc_lo, s16, v0
	v_add_co_ci_u32_e64 v1, null, s17, v1, vcc_lo
	s_subb_u32 s3, s19, 0
	s_mov_b32 s23, 0
	s_mov_b32 s22, exec_lo
	v_cmpx_gt_i64_e64 s[2:3], v[0:1]
	s_cbranch_execz .LBB25_43
; %bb.6:
	s_clause 0x1
	s_load_dwordx2 s[16:17], s[4:5], 0x58
	s_load_dwordx4 s[4:7], s[4:5], 0x18
	s_cmp_eq_u32 s10, 0
	v_mov_b32_e32 v8, 0
	s_cselect_b32 s24, -1, 0
	s_add_u32 s18, s20, s8
	s_addc_u32 s19, s21, 0
	s_lshl_b32 s25, s11, 2
	s_branch .LBB25_8
.LBB25_7:                               ;   in Loop: Header=BB25_8 Depth=1
	s_or_b32 exec_lo, exec_lo, s1
	s_and_b32 s0, exec_lo, s0
	s_or_b32 s23, s0, s23
	s_andn2_b32 exec_lo, exec_lo, s23
	s_cbranch_execz .LBB25_42
.LBB25_8:                               ; =>This Loop Header: Depth=1
                                        ;     Child Loop BB25_25 Depth 2
	v_lshlrev_b64 v[2:3], 3, v[0:1]
	v_lshlrev_b64 v[4:5], 2, v[0:1]
	s_waitcnt lgkmcnt(0)
	v_add_co_u32 v2, vcc_lo, s4, v2
	v_add_co_ci_u32_e64 v3, null, s5, v3, vcc_lo
	v_add_co_u32 v4, vcc_lo, s6, v4
	v_add_co_ci_u32_e64 v5, null, s7, v5, vcc_lo
	global_load_dwordx2 v[2:3], v[2:3], off slc
	global_load_dword v9, v[4:5], off slc
	s_waitcnt vmcnt(1)
	v_sub_co_u32 v2, vcc_lo, v2, s8
	v_subrev_co_ci_u32_e64 v3, null, 0, v3, vcc_lo
	s_waitcnt vmcnt(0)
	v_cmp_eq_f32_e64 s1, 0, v9
	v_cmp_eq_u64_e32 vcc_lo, s[20:21], v[2:3]
	v_cmp_ne_u64_e64 s0, s[20:21], v[2:3]
	s_and_b32 s26, s24, vcc_lo
	s_and_b32 s1, s1, s26
	s_and_saveexec_b32 s26, s1
	s_cbranch_execz .LBB25_12
; %bb.9:                                ;   in Loop: Header=BB25_8 Depth=1
	v_mbcnt_lo_u32_b32 v4, exec_lo, 0
	s_mov_b32 s27, exec_lo
	v_cmpx_eq_u32_e32 0, v4
	s_cbranch_execz .LBB25_11
; %bb.10:                               ;   in Loop: Header=BB25_8 Depth=1
	v_mov_b32_e32 v4, s18
	v_mov_b32_e32 v5, s19
	global_atomic_umin_x2 v8, v[4:5], s[16:17]
.LBB25_11:                              ;   in Loop: Header=BB25_8 Depth=1
	s_or_b32 exec_lo, exec_lo, s27
	v_mov_b32_e32 v9, 1.0
.LBB25_12:                              ;   in Loop: Header=BB25_8 Depth=1
	s_or_b32 exec_lo, exec_lo, s26
	s_mov_b32 s1, -1
	s_mov_b32 s26, 0
	s_cmp_lt_i32 s9, 1
	s_mov_b32 s27, 0
	s_cbranch_scc1 .LBB25_27
; %bb.13:                               ;   in Loop: Header=BB25_8 Depth=1
	s_cmp_eq_u32 s9, 1
	s_mov_b32 s27, -1
	s_cbranch_scc0 .LBB25_21
; %bb.14:                               ;   in Loop: Header=BB25_8 Depth=1
	s_mov_b32 s27, 0
	s_mov_b32 s28, exec_lo
	v_cmpx_le_i64_e64 s[20:21], v[2:3]
	s_cbranch_execz .LBB25_20
; %bb.15:                               ;   in Loop: Header=BB25_8 Depth=1
	s_mov_b32 s27, -1
	s_and_saveexec_b32 s1, vcc_lo
	s_xor_b32 s1, exec_lo, s1
	s_cbranch_execz .LBB25_19
; %bb.16:                               ;   in Loop: Header=BB25_8 Depth=1
	s_andn2_b32 vcc_lo, exec_lo, s24
	s_cbranch_vccnz .LBB25_18
; %bb.17:                               ;   in Loop: Header=BB25_8 Depth=1
	v_div_scale_f32 v4, null, v9, v9, 1.0
	v_div_scale_f32 v11, vcc_lo, 1.0, v9, 1.0
	v_rcp_f32_e32 v5, v4
	v_fma_f32 v10, -v4, v5, 1.0
	v_fmac_f32_e32 v5, v10, v5
	v_mul_f32_e32 v10, v11, v5
	v_fma_f32 v12, -v4, v10, v11
	v_fmac_f32_e32 v10, v12, v5
	v_fma_f32 v4, -v4, v10, v11
	v_div_fmas_f32 v4, v4, v5, v10
	v_mov_b32_e32 v5, s25
	v_div_fixup_f32 v4, v4, v9, 1.0
	ds_write_b32 v5, v4
.LBB25_18:                              ;   in Loop: Header=BB25_8 Depth=1
	s_xor_b32 s27, exec_lo, -1
.LBB25_19:                              ;   in Loop: Header=BB25_8 Depth=1
	s_or_b32 exec_lo, exec_lo, s1
	s_and_b32 s27, s27, exec_lo
.LBB25_20:                              ;   in Loop: Header=BB25_8 Depth=1
	s_or_b32 exec_lo, exec_lo, s28
.LBB25_21:                              ;   in Loop: Header=BB25_8 Depth=1
	s_mov_b32 s1, 4
.LBB25_22:                              ;   in Loop: Header=BB25_8 Depth=1
	v_mov_b32_e32 v4, s1
	v_mov_b32_e32 v5, v7
	s_and_saveexec_b32 s0, s27
	s_cbranch_execz .LBB25_34
.LBB25_23:                              ;   in Loop: Header=BB25_8 Depth=1
	v_lshlrev_b64 v[2:3], 2, v[2:3]
	s_mov_b32 s1, exec_lo
	v_add_co_u32 v4, vcc_lo, s14, v2
	v_add_co_ci_u32_e64 v5, null, s15, v3, vcc_lo
	global_load_dword v10, v[4:5], off glc dlc
	s_waitcnt vmcnt(0)
	v_cmpx_eq_u32_e32 0, v10
	s_cbranch_execz .LBB25_26
; %bb.24:                               ;   in Loop: Header=BB25_8 Depth=1
	s_mov_b32 s27, 0
.LBB25_25:                              ;   Parent Loop BB25_8 Depth=1
                                        ; =>  This Inner Loop Header: Depth=2
	global_load_dword v10, v[4:5], off glc dlc
	s_waitcnt vmcnt(0)
	v_cmp_ne_u32_e32 vcc_lo, 0, v10
	s_or_b32 s27, vcc_lo, s27
	s_andn2_b32 exec_lo, exec_lo, s27
	s_cbranch_execnz .LBB25_25
.LBB25_26:                              ;   in Loop: Header=BB25_8 Depth=1
	s_or_b32 exec_lo, exec_lo, s1
	v_add_co_u32 v2, vcc_lo, s12, v2
	v_add_co_ci_u32_e64 v3, null, s13, v3, vcc_lo
	s_waitcnt lgkmcnt(0)
	s_waitcnt_vscnt null, 0x0
	buffer_gl1_inv
	buffer_gl0_inv
	v_mov_b32_e32 v4, 0
	s_andn2_b32 s26, s26, exec_lo
	global_load_dword v2, v[2:3], off
	s_waitcnt vmcnt(0)
	v_fma_f32 v5, -v9, v2, v7
	s_or_b32 exec_lo, exec_lo, s0
	s_and_saveexec_b32 s0, s26
	s_cbranch_execnz .LBB25_35
	s_branch .LBB25_38
.LBB25_27:                              ;   in Loop: Header=BB25_8 Depth=1
	s_and_b32 vcc_lo, exec_lo, s1
	s_mov_b32 s1, 4
	s_cbranch_vccz .LBB25_22
; %bb.28:                               ;   in Loop: Header=BB25_8 Depth=1
	s_cmp_eq_u32 s9, 0
	s_cbranch_scc1 .LBB25_30
; %bb.29:                               ;   in Loop: Header=BB25_8 Depth=1
	s_mov_b32 s27, -1
	s_branch .LBB25_33
.LBB25_30:                              ;   in Loop: Header=BB25_8 Depth=1
	s_mov_b32 s27, 0
	s_mov_b32 s1, exec_lo
	v_cmpx_ge_i64_e64 s[20:21], v[2:3]
; %bb.31:                               ;   in Loop: Header=BB25_8 Depth=1
	s_mov_b32 s26, exec_lo
	s_and_b32 s27, s0, exec_lo
; %bb.32:                               ;   in Loop: Header=BB25_8 Depth=1
	s_or_b32 exec_lo, exec_lo, s1
.LBB25_33:                              ;   in Loop: Header=BB25_8 Depth=1
	s_mov_b32 s1, 2
	v_mov_b32_e32 v4, s1
	v_mov_b32_e32 v5, v7
	s_and_saveexec_b32 s0, s27
	s_cbranch_execnz .LBB25_23
.LBB25_34:                              ;   in Loop: Header=BB25_8 Depth=1
	s_or_b32 exec_lo, exec_lo, s0
	s_and_saveexec_b32 s0, s26
	s_cbranch_execz .LBB25_38
.LBB25_35:                              ;   in Loop: Header=BB25_8 Depth=1
	s_andn2_b32 vcc_lo, exec_lo, s24
	s_cbranch_vccnz .LBB25_37
; %bb.36:                               ;   in Loop: Header=BB25_8 Depth=1
	v_div_scale_f32 v2, null, v9, v9, 1.0
	v_div_scale_f32 v5, vcc_lo, 1.0, v9, 1.0
	v_rcp_f32_e32 v3, v2
	v_fma_f32 v4, -v2, v3, 1.0
	v_fmac_f32_e32 v3, v4, v3
	v_mul_f32_e32 v4, v5, v3
	v_fma_f32 v10, -v2, v4, v5
	v_fmac_f32_e32 v4, v10, v3
	v_fma_f32 v2, -v2, v4, v5
	v_div_fmas_f32 v2, v2, v3, v4
	v_mov_b32_e32 v3, s25
	v_div_fixup_f32 v2, v2, v9, 1.0
	ds_write_b32 v3, v2
.LBB25_37:                              ;   in Loop: Header=BB25_8 Depth=1
	v_mov_b32_e32 v4, 2
	v_mov_b32_e32 v5, v7
.LBB25_38:                              ;   in Loop: Header=BB25_8 Depth=1
	s_or_b32 exec_lo, exec_lo, s0
	v_mov_b32_e32 v7, v5
	s_mov_b32 s0, -1
	s_mov_b32 s26, -1
	s_mov_b32 s1, exec_lo
	v_cmpx_gt_i32_e32 4, v4
; %bb.39:                               ;   in Loop: Header=BB25_8 Depth=1
	v_cmp_eq_u32_e32 vcc_lo, 0, v4
	s_orn2_b32 s26, vcc_lo, exec_lo
; %bb.40:                               ;   in Loop: Header=BB25_8 Depth=1
	s_or_b32 exec_lo, exec_lo, s1
	s_and_saveexec_b32 s1, s26
	s_cbranch_execz .LBB25_7
; %bb.41:                               ;   in Loop: Header=BB25_8 Depth=1
	v_add_co_u32 v0, vcc_lo, v0, 32
	v_add_co_ci_u32_e64 v1, null, 0, v1, vcc_lo
	v_cmp_le_i64_e32 vcc_lo, s[2:3], v[0:1]
	s_orn2_b32 s0, vcc_lo, exec_lo
	s_branch .LBB25_7
.LBB25_42:
	s_or_b32 exec_lo, exec_lo, s23
.LBB25_43:
	s_or_b32 exec_lo, exec_lo, s22
	v_mbcnt_lo_u32_b32 v0, -1, 0
	s_cmp_lg_u32 s10, 0
	v_xor_b32_e32 v1, 16, v0
	v_xor_b32_e32 v2, 8, v0
	;; [unrolled: 1-line block ×3, first 2 shown]
	v_cmp_gt_i32_e32 vcc_lo, 32, v1
	v_cndmask_b32_e32 v1, v0, v1, vcc_lo
	v_cmp_gt_i32_e32 vcc_lo, 32, v2
	v_lshlrev_b32_e32 v1, 2, v1
	v_cndmask_b32_e32 v2, v0, v2, vcc_lo
	v_cmp_gt_i32_e32 vcc_lo, 32, v3
	ds_bpermute_b32 v1, v1, v7
	v_lshlrev_b32_e32 v2, 2, v2
	v_cndmask_b32_e32 v3, v0, v3, vcc_lo
	v_lshlrev_b32_e32 v3, 2, v3
	s_waitcnt lgkmcnt(0)
	v_add_f32_e32 v1, v7, v1
	ds_bpermute_b32 v2, v2, v1
	s_waitcnt lgkmcnt(0)
	v_add_f32_e32 v1, v1, v2
	ds_bpermute_b32 v2, v3, v1
	v_xor_b32_e32 v3, 2, v0
	v_cmp_gt_i32_e32 vcc_lo, 32, v3
	v_cndmask_b32_e32 v3, v0, v3, vcc_lo
	v_lshlrev_b32_e32 v3, 2, v3
	s_waitcnt lgkmcnt(0)
	v_add_f32_e32 v1, v1, v2
	ds_bpermute_b32 v2, v3, v1
	v_xor_b32_e32 v3, 1, v0
	v_cmp_gt_i32_e32 vcc_lo, 32, v3
	v_cndmask_b32_e32 v0, v0, v3, vcc_lo
	v_lshlrev_b32_e32 v0, 2, v0
	s_waitcnt lgkmcnt(0)
	v_add_f32_e32 v1, v1, v2
	ds_bpermute_b32 v0, v0, v1
	s_waitcnt lgkmcnt(0)
	v_add_f32_e32 v0, v1, v0
	s_cbranch_scc1 .LBB25_45
; %bb.44:
	s_lshl_b32 s0, s11, 2
	s_waitcnt_vscnt null, 0x0
	buffer_gl0_inv
	v_mov_b32_e32 v1, s0
	ds_read_b32 v1, v1
	s_waitcnt lgkmcnt(0)
	v_mul_f32_e32 v0, v0, v1
.LBB25_45:
	s_mov_b32 s0, exec_lo
	v_cmpx_eq_u32_e32 31, v6
	s_cbranch_execz .LBB25_47
; %bb.46:
	s_lshl_b64 s[0:1], s[20:21], 2
	v_mov_b32_e32 v1, 0
	s_add_u32 s2, s12, s0
	v_mov_b32_e32 v2, 1
	s_addc_u32 s3, s13, s1
	s_add_u32 s0, s14, s0
	s_addc_u32 s1, s15, s1
	global_store_dword v1, v0, s[2:3] glc slc
	s_waitcnt_vscnt null, 0x0
	global_store_dword v1, v2, s[0:1]
.LBB25_47:
	s_endpgm
	.section	.rodata,"a",@progbits
	.p2align	6, 0x0
	.amdhsa_kernel _ZN9rocsparseL12csrsv_kernelILj1024ELj32ELb0EllfEEvT3_NS_24const_host_device_scalarIT4_EEPKT2_PKS1_PKS3_SB_lPS3_PiS9_iPS1_21rocsparse_index_base_20rocsparse_fill_mode_20rocsparse_diag_type_b
		.amdhsa_group_segment_fixed_size 128
		.amdhsa_private_segment_fixed_size 0
		.amdhsa_kernarg_size 112
		.amdhsa_user_sgpr_count 6
		.amdhsa_user_sgpr_private_segment_buffer 1
		.amdhsa_user_sgpr_dispatch_ptr 0
		.amdhsa_user_sgpr_queue_ptr 0
		.amdhsa_user_sgpr_kernarg_segment_ptr 1
		.amdhsa_user_sgpr_dispatch_id 0
		.amdhsa_user_sgpr_flat_scratch_init 0
		.amdhsa_user_sgpr_private_segment_size 0
		.amdhsa_wavefront_size32 1
		.amdhsa_uses_dynamic_stack 0
		.amdhsa_system_sgpr_private_segment_wavefront_offset 0
		.amdhsa_system_sgpr_workgroup_id_x 1
		.amdhsa_system_sgpr_workgroup_id_y 0
		.amdhsa_system_sgpr_workgroup_id_z 0
		.amdhsa_system_sgpr_workgroup_info 0
		.amdhsa_system_vgpr_workitem_id 0
		.amdhsa_next_free_vgpr 13
		.amdhsa_next_free_sgpr 29
		.amdhsa_reserve_vcc 1
		.amdhsa_reserve_flat_scratch 0
		.amdhsa_float_round_mode_32 0
		.amdhsa_float_round_mode_16_64 0
		.amdhsa_float_denorm_mode_32 3
		.amdhsa_float_denorm_mode_16_64 3
		.amdhsa_dx10_clamp 1
		.amdhsa_ieee_mode 1
		.amdhsa_fp16_overflow 0
		.amdhsa_workgroup_processor_mode 1
		.amdhsa_memory_ordered 1
		.amdhsa_forward_progress 1
		.amdhsa_shared_vgpr_count 0
		.amdhsa_exception_fp_ieee_invalid_op 0
		.amdhsa_exception_fp_denorm_src 0
		.amdhsa_exception_fp_ieee_div_zero 0
		.amdhsa_exception_fp_ieee_overflow 0
		.amdhsa_exception_fp_ieee_underflow 0
		.amdhsa_exception_fp_ieee_inexact 0
		.amdhsa_exception_int_div_zero 0
	.end_amdhsa_kernel
	.section	.text._ZN9rocsparseL12csrsv_kernelILj1024ELj32ELb0EllfEEvT3_NS_24const_host_device_scalarIT4_EEPKT2_PKS1_PKS3_SB_lPS3_PiS9_iPS1_21rocsparse_index_base_20rocsparse_fill_mode_20rocsparse_diag_type_b,"axG",@progbits,_ZN9rocsparseL12csrsv_kernelILj1024ELj32ELb0EllfEEvT3_NS_24const_host_device_scalarIT4_EEPKT2_PKS1_PKS3_SB_lPS3_PiS9_iPS1_21rocsparse_index_base_20rocsparse_fill_mode_20rocsparse_diag_type_b,comdat
.Lfunc_end25:
	.size	_ZN9rocsparseL12csrsv_kernelILj1024ELj32ELb0EllfEEvT3_NS_24const_host_device_scalarIT4_EEPKT2_PKS1_PKS3_SB_lPS3_PiS9_iPS1_21rocsparse_index_base_20rocsparse_fill_mode_20rocsparse_diag_type_b, .Lfunc_end25-_ZN9rocsparseL12csrsv_kernelILj1024ELj32ELb0EllfEEvT3_NS_24const_host_device_scalarIT4_EEPKT2_PKS1_PKS3_SB_lPS3_PiS9_iPS1_21rocsparse_index_base_20rocsparse_fill_mode_20rocsparse_diag_type_b
                                        ; -- End function
	.set _ZN9rocsparseL12csrsv_kernelILj1024ELj32ELb0EllfEEvT3_NS_24const_host_device_scalarIT4_EEPKT2_PKS1_PKS3_SB_lPS3_PiS9_iPS1_21rocsparse_index_base_20rocsparse_fill_mode_20rocsparse_diag_type_b.num_vgpr, 13
	.set _ZN9rocsparseL12csrsv_kernelILj1024ELj32ELb0EllfEEvT3_NS_24const_host_device_scalarIT4_EEPKT2_PKS1_PKS3_SB_lPS3_PiS9_iPS1_21rocsparse_index_base_20rocsparse_fill_mode_20rocsparse_diag_type_b.num_agpr, 0
	.set _ZN9rocsparseL12csrsv_kernelILj1024ELj32ELb0EllfEEvT3_NS_24const_host_device_scalarIT4_EEPKT2_PKS1_PKS3_SB_lPS3_PiS9_iPS1_21rocsparse_index_base_20rocsparse_fill_mode_20rocsparse_diag_type_b.numbered_sgpr, 29
	.set _ZN9rocsparseL12csrsv_kernelILj1024ELj32ELb0EllfEEvT3_NS_24const_host_device_scalarIT4_EEPKT2_PKS1_PKS3_SB_lPS3_PiS9_iPS1_21rocsparse_index_base_20rocsparse_fill_mode_20rocsparse_diag_type_b.num_named_barrier, 0
	.set _ZN9rocsparseL12csrsv_kernelILj1024ELj32ELb0EllfEEvT3_NS_24const_host_device_scalarIT4_EEPKT2_PKS1_PKS3_SB_lPS3_PiS9_iPS1_21rocsparse_index_base_20rocsparse_fill_mode_20rocsparse_diag_type_b.private_seg_size, 0
	.set _ZN9rocsparseL12csrsv_kernelILj1024ELj32ELb0EllfEEvT3_NS_24const_host_device_scalarIT4_EEPKT2_PKS1_PKS3_SB_lPS3_PiS9_iPS1_21rocsparse_index_base_20rocsparse_fill_mode_20rocsparse_diag_type_b.uses_vcc, 1
	.set _ZN9rocsparseL12csrsv_kernelILj1024ELj32ELb0EllfEEvT3_NS_24const_host_device_scalarIT4_EEPKT2_PKS1_PKS3_SB_lPS3_PiS9_iPS1_21rocsparse_index_base_20rocsparse_fill_mode_20rocsparse_diag_type_b.uses_flat_scratch, 0
	.set _ZN9rocsparseL12csrsv_kernelILj1024ELj32ELb0EllfEEvT3_NS_24const_host_device_scalarIT4_EEPKT2_PKS1_PKS3_SB_lPS3_PiS9_iPS1_21rocsparse_index_base_20rocsparse_fill_mode_20rocsparse_diag_type_b.has_dyn_sized_stack, 0
	.set _ZN9rocsparseL12csrsv_kernelILj1024ELj32ELb0EllfEEvT3_NS_24const_host_device_scalarIT4_EEPKT2_PKS1_PKS3_SB_lPS3_PiS9_iPS1_21rocsparse_index_base_20rocsparse_fill_mode_20rocsparse_diag_type_b.has_recursion, 0
	.set _ZN9rocsparseL12csrsv_kernelILj1024ELj32ELb0EllfEEvT3_NS_24const_host_device_scalarIT4_EEPKT2_PKS1_PKS3_SB_lPS3_PiS9_iPS1_21rocsparse_index_base_20rocsparse_fill_mode_20rocsparse_diag_type_b.has_indirect_call, 0
	.section	.AMDGPU.csdata,"",@progbits
; Kernel info:
; codeLenInByte = 1492
; TotalNumSgprs: 31
; NumVgprs: 13
; ScratchSize: 0
; MemoryBound: 0
; FloatMode: 240
; IeeeMode: 1
; LDSByteSize: 128 bytes/workgroup (compile time only)
; SGPRBlocks: 0
; VGPRBlocks: 1
; NumSGPRsForWavesPerEU: 31
; NumVGPRsForWavesPerEU: 13
; Occupancy: 16
; WaveLimiterHint : 1
; COMPUTE_PGM_RSRC2:SCRATCH_EN: 0
; COMPUTE_PGM_RSRC2:USER_SGPR: 6
; COMPUTE_PGM_RSRC2:TRAP_HANDLER: 0
; COMPUTE_PGM_RSRC2:TGID_X_EN: 1
; COMPUTE_PGM_RSRC2:TGID_Y_EN: 0
; COMPUTE_PGM_RSRC2:TGID_Z_EN: 0
; COMPUTE_PGM_RSRC2:TIDIG_COMP_CNT: 0
	.section	.text._ZN9rocsparseL12csrsv_kernelILj1024ELj64ELb0EllfEEvT3_NS_24const_host_device_scalarIT4_EEPKT2_PKS1_PKS3_SB_lPS3_PiS9_iPS1_21rocsparse_index_base_20rocsparse_fill_mode_20rocsparse_diag_type_b,"axG",@progbits,_ZN9rocsparseL12csrsv_kernelILj1024ELj64ELb0EllfEEvT3_NS_24const_host_device_scalarIT4_EEPKT2_PKS1_PKS3_SB_lPS3_PiS9_iPS1_21rocsparse_index_base_20rocsparse_fill_mode_20rocsparse_diag_type_b,comdat
	.globl	_ZN9rocsparseL12csrsv_kernelILj1024ELj64ELb0EllfEEvT3_NS_24const_host_device_scalarIT4_EEPKT2_PKS1_PKS3_SB_lPS3_PiS9_iPS1_21rocsparse_index_base_20rocsparse_fill_mode_20rocsparse_diag_type_b ; -- Begin function _ZN9rocsparseL12csrsv_kernelILj1024ELj64ELb0EllfEEvT3_NS_24const_host_device_scalarIT4_EEPKT2_PKS1_PKS3_SB_lPS3_PiS9_iPS1_21rocsparse_index_base_20rocsparse_fill_mode_20rocsparse_diag_type_b
	.p2align	8
	.type	_ZN9rocsparseL12csrsv_kernelILj1024ELj64ELb0EllfEEvT3_NS_24const_host_device_scalarIT4_EEPKT2_PKS1_PKS3_SB_lPS3_PiS9_iPS1_21rocsparse_index_base_20rocsparse_fill_mode_20rocsparse_diag_type_b,@function
_ZN9rocsparseL12csrsv_kernelILj1024ELj64ELb0EllfEEvT3_NS_24const_host_device_scalarIT4_EEPKT2_PKS1_PKS3_SB_lPS3_PiS9_iPS1_21rocsparse_index_base_20rocsparse_fill_mode_20rocsparse_diag_type_b: ; @_ZN9rocsparseL12csrsv_kernelILj1024ELj64ELb0EllfEEvT3_NS_24const_host_device_scalarIT4_EEPKT2_PKS1_PKS3_SB_lPS3_PiS9_iPS1_21rocsparse_index_base_20rocsparse_fill_mode_20rocsparse_diag_type_b
; %bb.0:
	s_clause 0x1
	s_load_dwordx4 s[8:11], s[4:5], 0x60
	s_load_dwordx4 s[0:3], s[4:5], 0x0
	s_waitcnt lgkmcnt(0)
	s_bitcmp1_b32 s11, 0
	s_cselect_b32 s7, -1, 0
	s_and_b32 vcc_lo, exec_lo, s7
	s_cbranch_vccnz .LBB26_2
; %bb.1:
	s_load_dword s2, s[2:3], 0x0
.LBB26_2:
	v_readfirstlane_b32 s3, v0
	s_lshl_b32 s6, s6, 4
	s_mov_b32 s7, 0
	s_lshr_b32 s11, s3, 6
	s_add_i32 s6, s11, s6
	v_cmp_le_i64_e64 s0, s[0:1], s[6:7]
	s_and_b32 vcc_lo, exec_lo, s0
	s_cbranch_vccnz .LBB26_47
; %bb.3:
	s_clause 0x1
	s_load_dword s0, s[4:5], 0x50
	s_load_dwordx2 s[12:13], s[4:5], 0x48
	s_lshl_b64 s[6:7], s[6:7], 3
	v_and_b32_e32 v6, 63, v0
	v_mov_b32_e32 v7, 0
	s_waitcnt lgkmcnt(0)
	s_ashr_i32 s1, s0, 31
	s_add_u32 s3, s12, s6
	s_addc_u32 s6, s13, s7
	s_lshl_b64 s[0:1], s[0:1], 3
	s_add_u32 s0, s3, s0
	s_addc_u32 s1, s6, s1
	s_load_dwordx2 s[20:21], s[0:1], 0x0
	s_load_dwordx2 s[0:1], s[4:5], 0x10
	s_waitcnt lgkmcnt(0)
	s_lshl_b64 s[6:7], s[20:21], 3
	s_add_u32 s0, s0, s6
	s_addc_u32 s1, s1, s7
	s_load_dwordx4 s[12:15], s[4:5], 0x38
	s_load_dwordx4 s[16:19], s[0:1], 0x0
	s_mov_b32 s0, exec_lo
	v_cmpx_eq_u32_e32 0, v6
	s_cbranch_execz .LBB26_5
; %bb.4:
	s_load_dwordx4 s[24:27], s[4:5], 0x28
	s_waitcnt lgkmcnt(0)
	s_mul_i32 s1, s20, s27
	s_mul_hi_u32 s3, s20, s26
	s_mul_i32 s6, s21, s26
	s_add_i32 s1, s3, s1
	s_add_i32 s7, s1, s6
	s_mul_i32 s6, s20, s26
	s_lshl_b64 s[6:7], s[6:7], 2
	s_add_u32 s6, s24, s6
	s_addc_u32 s7, s25, s7
	s_load_dword s1, s[6:7], 0x0
	s_waitcnt lgkmcnt(0)
	v_mul_f32_e64 v7, s2, s1
.LBB26_5:
	s_or_b32 exec_lo, exec_lo, s0
	v_sub_co_u32 v0, s0, v6, s8
	v_sub_co_ci_u32_e64 v1, null, 0, 0, s0
	s_waitcnt lgkmcnt(0)
	s_sub_u32 s2, s18, s8
	v_add_co_u32 v0, vcc_lo, s16, v0
	v_add_co_ci_u32_e64 v1, null, s17, v1, vcc_lo
	s_subb_u32 s3, s19, 0
	s_mov_b32 s23, 0
	s_mov_b32 s22, exec_lo
	v_cmpx_gt_i64_e64 s[2:3], v[0:1]
	s_cbranch_execz .LBB26_43
; %bb.6:
	s_clause 0x1
	s_load_dwordx2 s[16:17], s[4:5], 0x58
	s_load_dwordx4 s[4:7], s[4:5], 0x18
	s_cmp_eq_u32 s10, 0
	v_mov_b32_e32 v8, 0
	s_cselect_b32 s24, -1, 0
	s_add_u32 s18, s20, s8
	s_addc_u32 s19, s21, 0
	s_lshl_b32 s25, s11, 2
	s_branch .LBB26_8
.LBB26_7:                               ;   in Loop: Header=BB26_8 Depth=1
	s_or_b32 exec_lo, exec_lo, s1
	s_and_b32 s0, exec_lo, s0
	s_or_b32 s23, s0, s23
	s_andn2_b32 exec_lo, exec_lo, s23
	s_cbranch_execz .LBB26_42
.LBB26_8:                               ; =>This Loop Header: Depth=1
                                        ;     Child Loop BB26_25 Depth 2
	v_lshlrev_b64 v[2:3], 3, v[0:1]
	v_lshlrev_b64 v[4:5], 2, v[0:1]
	s_waitcnt lgkmcnt(0)
	v_add_co_u32 v2, vcc_lo, s4, v2
	v_add_co_ci_u32_e64 v3, null, s5, v3, vcc_lo
	v_add_co_u32 v4, vcc_lo, s6, v4
	v_add_co_ci_u32_e64 v5, null, s7, v5, vcc_lo
	global_load_dwordx2 v[2:3], v[2:3], off slc
	global_load_dword v9, v[4:5], off slc
	s_waitcnt vmcnt(1)
	v_sub_co_u32 v2, vcc_lo, v2, s8
	v_subrev_co_ci_u32_e64 v3, null, 0, v3, vcc_lo
	s_waitcnt vmcnt(0)
	v_cmp_eq_f32_e64 s1, 0, v9
	v_cmp_eq_u64_e32 vcc_lo, s[20:21], v[2:3]
	v_cmp_ne_u64_e64 s0, s[20:21], v[2:3]
	s_and_b32 s26, s24, vcc_lo
	s_and_b32 s1, s1, s26
	s_and_saveexec_b32 s26, s1
	s_cbranch_execz .LBB26_12
; %bb.9:                                ;   in Loop: Header=BB26_8 Depth=1
	v_mbcnt_lo_u32_b32 v4, exec_lo, 0
	s_mov_b32 s27, exec_lo
	v_cmpx_eq_u32_e32 0, v4
	s_cbranch_execz .LBB26_11
; %bb.10:                               ;   in Loop: Header=BB26_8 Depth=1
	v_mov_b32_e32 v4, s18
	v_mov_b32_e32 v5, s19
	global_atomic_umin_x2 v8, v[4:5], s[16:17]
.LBB26_11:                              ;   in Loop: Header=BB26_8 Depth=1
	s_or_b32 exec_lo, exec_lo, s27
	v_mov_b32_e32 v9, 1.0
.LBB26_12:                              ;   in Loop: Header=BB26_8 Depth=1
	s_or_b32 exec_lo, exec_lo, s26
	s_mov_b32 s1, -1
	s_mov_b32 s26, 0
	s_cmp_lt_i32 s9, 1
	s_mov_b32 s27, 0
	s_cbranch_scc1 .LBB26_27
; %bb.13:                               ;   in Loop: Header=BB26_8 Depth=1
	s_cmp_eq_u32 s9, 1
	s_mov_b32 s27, -1
	s_cbranch_scc0 .LBB26_21
; %bb.14:                               ;   in Loop: Header=BB26_8 Depth=1
	s_mov_b32 s27, 0
	s_mov_b32 s28, exec_lo
	v_cmpx_le_i64_e64 s[20:21], v[2:3]
	s_cbranch_execz .LBB26_20
; %bb.15:                               ;   in Loop: Header=BB26_8 Depth=1
	s_mov_b32 s27, -1
	s_and_saveexec_b32 s1, vcc_lo
	s_xor_b32 s1, exec_lo, s1
	s_cbranch_execz .LBB26_19
; %bb.16:                               ;   in Loop: Header=BB26_8 Depth=1
	s_andn2_b32 vcc_lo, exec_lo, s24
	s_cbranch_vccnz .LBB26_18
; %bb.17:                               ;   in Loop: Header=BB26_8 Depth=1
	v_div_scale_f32 v4, null, v9, v9, 1.0
	v_div_scale_f32 v11, vcc_lo, 1.0, v9, 1.0
	v_rcp_f32_e32 v5, v4
	v_fma_f32 v10, -v4, v5, 1.0
	v_fmac_f32_e32 v5, v10, v5
	v_mul_f32_e32 v10, v11, v5
	v_fma_f32 v12, -v4, v10, v11
	v_fmac_f32_e32 v10, v12, v5
	v_fma_f32 v4, -v4, v10, v11
	v_div_fmas_f32 v4, v4, v5, v10
	v_mov_b32_e32 v5, s25
	v_div_fixup_f32 v4, v4, v9, 1.0
	ds_write_b32 v5, v4
.LBB26_18:                              ;   in Loop: Header=BB26_8 Depth=1
	s_xor_b32 s27, exec_lo, -1
.LBB26_19:                              ;   in Loop: Header=BB26_8 Depth=1
	s_or_b32 exec_lo, exec_lo, s1
	s_and_b32 s27, s27, exec_lo
.LBB26_20:                              ;   in Loop: Header=BB26_8 Depth=1
	s_or_b32 exec_lo, exec_lo, s28
.LBB26_21:                              ;   in Loop: Header=BB26_8 Depth=1
	s_mov_b32 s1, 4
.LBB26_22:                              ;   in Loop: Header=BB26_8 Depth=1
	v_mov_b32_e32 v4, s1
	v_mov_b32_e32 v5, v7
	s_and_saveexec_b32 s0, s27
	s_cbranch_execz .LBB26_34
.LBB26_23:                              ;   in Loop: Header=BB26_8 Depth=1
	v_lshlrev_b64 v[2:3], 2, v[2:3]
	s_mov_b32 s1, exec_lo
	v_add_co_u32 v4, vcc_lo, s14, v2
	v_add_co_ci_u32_e64 v5, null, s15, v3, vcc_lo
	global_load_dword v10, v[4:5], off glc dlc
	s_waitcnt vmcnt(0)
	v_cmpx_eq_u32_e32 0, v10
	s_cbranch_execz .LBB26_26
; %bb.24:                               ;   in Loop: Header=BB26_8 Depth=1
	s_mov_b32 s27, 0
.LBB26_25:                              ;   Parent Loop BB26_8 Depth=1
                                        ; =>  This Inner Loop Header: Depth=2
	global_load_dword v10, v[4:5], off glc dlc
	s_waitcnt vmcnt(0)
	v_cmp_ne_u32_e32 vcc_lo, 0, v10
	s_or_b32 s27, vcc_lo, s27
	s_andn2_b32 exec_lo, exec_lo, s27
	s_cbranch_execnz .LBB26_25
.LBB26_26:                              ;   in Loop: Header=BB26_8 Depth=1
	s_or_b32 exec_lo, exec_lo, s1
	v_add_co_u32 v2, vcc_lo, s12, v2
	v_add_co_ci_u32_e64 v3, null, s13, v3, vcc_lo
	s_waitcnt lgkmcnt(0)
	s_waitcnt_vscnt null, 0x0
	buffer_gl1_inv
	buffer_gl0_inv
	v_mov_b32_e32 v4, 0
	s_andn2_b32 s26, s26, exec_lo
	global_load_dword v2, v[2:3], off
	s_waitcnt vmcnt(0)
	v_fma_f32 v5, -v9, v2, v7
	s_or_b32 exec_lo, exec_lo, s0
	s_and_saveexec_b32 s0, s26
	s_cbranch_execnz .LBB26_35
	s_branch .LBB26_38
.LBB26_27:                              ;   in Loop: Header=BB26_8 Depth=1
	s_and_b32 vcc_lo, exec_lo, s1
	s_mov_b32 s1, 4
	s_cbranch_vccz .LBB26_22
; %bb.28:                               ;   in Loop: Header=BB26_8 Depth=1
	s_cmp_eq_u32 s9, 0
	s_cbranch_scc1 .LBB26_30
; %bb.29:                               ;   in Loop: Header=BB26_8 Depth=1
	s_mov_b32 s27, -1
	s_branch .LBB26_33
.LBB26_30:                              ;   in Loop: Header=BB26_8 Depth=1
	s_mov_b32 s27, 0
	s_mov_b32 s1, exec_lo
	v_cmpx_ge_i64_e64 s[20:21], v[2:3]
; %bb.31:                               ;   in Loop: Header=BB26_8 Depth=1
	s_mov_b32 s26, exec_lo
	s_and_b32 s27, s0, exec_lo
; %bb.32:                               ;   in Loop: Header=BB26_8 Depth=1
	s_or_b32 exec_lo, exec_lo, s1
.LBB26_33:                              ;   in Loop: Header=BB26_8 Depth=1
	s_mov_b32 s1, 2
	v_mov_b32_e32 v4, s1
	v_mov_b32_e32 v5, v7
	s_and_saveexec_b32 s0, s27
	s_cbranch_execnz .LBB26_23
.LBB26_34:                              ;   in Loop: Header=BB26_8 Depth=1
	s_or_b32 exec_lo, exec_lo, s0
	s_and_saveexec_b32 s0, s26
	s_cbranch_execz .LBB26_38
.LBB26_35:                              ;   in Loop: Header=BB26_8 Depth=1
	s_andn2_b32 vcc_lo, exec_lo, s24
	s_cbranch_vccnz .LBB26_37
; %bb.36:                               ;   in Loop: Header=BB26_8 Depth=1
	v_div_scale_f32 v2, null, v9, v9, 1.0
	v_div_scale_f32 v5, vcc_lo, 1.0, v9, 1.0
	v_rcp_f32_e32 v3, v2
	v_fma_f32 v4, -v2, v3, 1.0
	v_fmac_f32_e32 v3, v4, v3
	v_mul_f32_e32 v4, v5, v3
	v_fma_f32 v10, -v2, v4, v5
	v_fmac_f32_e32 v4, v10, v3
	v_fma_f32 v2, -v2, v4, v5
	v_div_fmas_f32 v2, v2, v3, v4
	v_mov_b32_e32 v3, s25
	v_div_fixup_f32 v2, v2, v9, 1.0
	ds_write_b32 v3, v2
.LBB26_37:                              ;   in Loop: Header=BB26_8 Depth=1
	v_mov_b32_e32 v4, 2
	v_mov_b32_e32 v5, v7
.LBB26_38:                              ;   in Loop: Header=BB26_8 Depth=1
	s_or_b32 exec_lo, exec_lo, s0
	v_mov_b32_e32 v7, v5
	s_mov_b32 s0, -1
	s_mov_b32 s26, -1
	s_mov_b32 s1, exec_lo
	v_cmpx_gt_i32_e32 4, v4
; %bb.39:                               ;   in Loop: Header=BB26_8 Depth=1
	v_cmp_eq_u32_e32 vcc_lo, 0, v4
	s_orn2_b32 s26, vcc_lo, exec_lo
; %bb.40:                               ;   in Loop: Header=BB26_8 Depth=1
	s_or_b32 exec_lo, exec_lo, s1
	s_and_saveexec_b32 s1, s26
	s_cbranch_execz .LBB26_7
; %bb.41:                               ;   in Loop: Header=BB26_8 Depth=1
	v_add_co_u32 v0, vcc_lo, v0, 64
	v_add_co_ci_u32_e64 v1, null, 0, v1, vcc_lo
	v_cmp_le_i64_e32 vcc_lo, s[2:3], v[0:1]
	s_orn2_b32 s0, vcc_lo, exec_lo
	s_branch .LBB26_7
.LBB26_42:
	s_or_b32 exec_lo, exec_lo, s23
.LBB26_43:
	s_or_b32 exec_lo, exec_lo, s22
	v_mbcnt_lo_u32_b32 v0, -1, 0
	s_cmp_lg_u32 s10, 0
	v_or_b32_e32 v1, 32, v0
	v_xor_b32_e32 v2, 16, v0
	v_xor_b32_e32 v3, 8, v0
	v_cmp_gt_i32_e32 vcc_lo, 32, v1
	v_cndmask_b32_e32 v1, v0, v1, vcc_lo
	v_cmp_gt_i32_e32 vcc_lo, 32, v2
	v_lshlrev_b32_e32 v1, 2, v1
	v_cndmask_b32_e32 v2, v0, v2, vcc_lo
	v_cmp_gt_i32_e32 vcc_lo, 32, v3
	ds_bpermute_b32 v1, v1, v7
	v_lshlrev_b32_e32 v2, 2, v2
	v_cndmask_b32_e32 v3, v0, v3, vcc_lo
	v_lshlrev_b32_e32 v3, 2, v3
	s_waitcnt lgkmcnt(0)
	v_add_f32_e32 v1, v7, v1
	ds_bpermute_b32 v2, v2, v1
	s_waitcnt lgkmcnt(0)
	v_add_f32_e32 v1, v1, v2
	ds_bpermute_b32 v2, v3, v1
	v_xor_b32_e32 v3, 4, v0
	v_cmp_gt_i32_e32 vcc_lo, 32, v3
	v_cndmask_b32_e32 v3, v0, v3, vcc_lo
	v_lshlrev_b32_e32 v3, 2, v3
	s_waitcnt lgkmcnt(0)
	v_add_f32_e32 v1, v1, v2
	ds_bpermute_b32 v2, v3, v1
	v_xor_b32_e32 v3, 2, v0
	v_cmp_gt_i32_e32 vcc_lo, 32, v3
	v_cndmask_b32_e32 v3, v0, v3, vcc_lo
	v_lshlrev_b32_e32 v3, 2, v3
	s_waitcnt lgkmcnt(0)
	v_add_f32_e32 v1, v1, v2
	ds_bpermute_b32 v2, v3, v1
	v_xor_b32_e32 v3, 1, v0
	v_cmp_gt_i32_e32 vcc_lo, 32, v3
	v_cndmask_b32_e32 v0, v0, v3, vcc_lo
	v_lshlrev_b32_e32 v0, 2, v0
	s_waitcnt lgkmcnt(0)
	v_add_f32_e32 v1, v1, v2
	ds_bpermute_b32 v0, v0, v1
	s_waitcnt lgkmcnt(0)
	v_add_f32_e32 v0, v1, v0
	s_cbranch_scc1 .LBB26_45
; %bb.44:
	s_lshl_b32 s0, s11, 2
	s_waitcnt_vscnt null, 0x0
	buffer_gl0_inv
	v_mov_b32_e32 v1, s0
	ds_read_b32 v1, v1
	s_waitcnt lgkmcnt(0)
	v_mul_f32_e32 v0, v0, v1
.LBB26_45:
	s_mov_b32 s0, exec_lo
	v_cmpx_eq_u32_e32 63, v6
	s_cbranch_execz .LBB26_47
; %bb.46:
	s_lshl_b64 s[0:1], s[20:21], 2
	v_mov_b32_e32 v1, 0
	s_add_u32 s2, s12, s0
	v_mov_b32_e32 v2, 1
	s_addc_u32 s3, s13, s1
	s_add_u32 s0, s14, s0
	s_addc_u32 s1, s15, s1
	global_store_dword v1, v0, s[2:3] glc slc
	s_waitcnt_vscnt null, 0x0
	global_store_dword v1, v2, s[0:1]
.LBB26_47:
	s_endpgm
	.section	.rodata,"a",@progbits
	.p2align	6, 0x0
	.amdhsa_kernel _ZN9rocsparseL12csrsv_kernelILj1024ELj64ELb0EllfEEvT3_NS_24const_host_device_scalarIT4_EEPKT2_PKS1_PKS3_SB_lPS3_PiS9_iPS1_21rocsparse_index_base_20rocsparse_fill_mode_20rocsparse_diag_type_b
		.amdhsa_group_segment_fixed_size 64
		.amdhsa_private_segment_fixed_size 0
		.amdhsa_kernarg_size 112
		.amdhsa_user_sgpr_count 6
		.amdhsa_user_sgpr_private_segment_buffer 1
		.amdhsa_user_sgpr_dispatch_ptr 0
		.amdhsa_user_sgpr_queue_ptr 0
		.amdhsa_user_sgpr_kernarg_segment_ptr 1
		.amdhsa_user_sgpr_dispatch_id 0
		.amdhsa_user_sgpr_flat_scratch_init 0
		.amdhsa_user_sgpr_private_segment_size 0
		.amdhsa_wavefront_size32 1
		.amdhsa_uses_dynamic_stack 0
		.amdhsa_system_sgpr_private_segment_wavefront_offset 0
		.amdhsa_system_sgpr_workgroup_id_x 1
		.amdhsa_system_sgpr_workgroup_id_y 0
		.amdhsa_system_sgpr_workgroup_id_z 0
		.amdhsa_system_sgpr_workgroup_info 0
		.amdhsa_system_vgpr_workitem_id 0
		.amdhsa_next_free_vgpr 13
		.amdhsa_next_free_sgpr 29
		.amdhsa_reserve_vcc 1
		.amdhsa_reserve_flat_scratch 0
		.amdhsa_float_round_mode_32 0
		.amdhsa_float_round_mode_16_64 0
		.amdhsa_float_denorm_mode_32 3
		.amdhsa_float_denorm_mode_16_64 3
		.amdhsa_dx10_clamp 1
		.amdhsa_ieee_mode 1
		.amdhsa_fp16_overflow 0
		.amdhsa_workgroup_processor_mode 1
		.amdhsa_memory_ordered 1
		.amdhsa_forward_progress 1
		.amdhsa_shared_vgpr_count 0
		.amdhsa_exception_fp_ieee_invalid_op 0
		.amdhsa_exception_fp_denorm_src 0
		.amdhsa_exception_fp_ieee_div_zero 0
		.amdhsa_exception_fp_ieee_overflow 0
		.amdhsa_exception_fp_ieee_underflow 0
		.amdhsa_exception_fp_ieee_inexact 0
		.amdhsa_exception_int_div_zero 0
	.end_amdhsa_kernel
	.section	.text._ZN9rocsparseL12csrsv_kernelILj1024ELj64ELb0EllfEEvT3_NS_24const_host_device_scalarIT4_EEPKT2_PKS1_PKS3_SB_lPS3_PiS9_iPS1_21rocsparse_index_base_20rocsparse_fill_mode_20rocsparse_diag_type_b,"axG",@progbits,_ZN9rocsparseL12csrsv_kernelILj1024ELj64ELb0EllfEEvT3_NS_24const_host_device_scalarIT4_EEPKT2_PKS1_PKS3_SB_lPS3_PiS9_iPS1_21rocsparse_index_base_20rocsparse_fill_mode_20rocsparse_diag_type_b,comdat
.Lfunc_end26:
	.size	_ZN9rocsparseL12csrsv_kernelILj1024ELj64ELb0EllfEEvT3_NS_24const_host_device_scalarIT4_EEPKT2_PKS1_PKS3_SB_lPS3_PiS9_iPS1_21rocsparse_index_base_20rocsparse_fill_mode_20rocsparse_diag_type_b, .Lfunc_end26-_ZN9rocsparseL12csrsv_kernelILj1024ELj64ELb0EllfEEvT3_NS_24const_host_device_scalarIT4_EEPKT2_PKS1_PKS3_SB_lPS3_PiS9_iPS1_21rocsparse_index_base_20rocsparse_fill_mode_20rocsparse_diag_type_b
                                        ; -- End function
	.set _ZN9rocsparseL12csrsv_kernelILj1024ELj64ELb0EllfEEvT3_NS_24const_host_device_scalarIT4_EEPKT2_PKS1_PKS3_SB_lPS3_PiS9_iPS1_21rocsparse_index_base_20rocsparse_fill_mode_20rocsparse_diag_type_b.num_vgpr, 13
	.set _ZN9rocsparseL12csrsv_kernelILj1024ELj64ELb0EllfEEvT3_NS_24const_host_device_scalarIT4_EEPKT2_PKS1_PKS3_SB_lPS3_PiS9_iPS1_21rocsparse_index_base_20rocsparse_fill_mode_20rocsparse_diag_type_b.num_agpr, 0
	.set _ZN9rocsparseL12csrsv_kernelILj1024ELj64ELb0EllfEEvT3_NS_24const_host_device_scalarIT4_EEPKT2_PKS1_PKS3_SB_lPS3_PiS9_iPS1_21rocsparse_index_base_20rocsparse_fill_mode_20rocsparse_diag_type_b.numbered_sgpr, 29
	.set _ZN9rocsparseL12csrsv_kernelILj1024ELj64ELb0EllfEEvT3_NS_24const_host_device_scalarIT4_EEPKT2_PKS1_PKS3_SB_lPS3_PiS9_iPS1_21rocsparse_index_base_20rocsparse_fill_mode_20rocsparse_diag_type_b.num_named_barrier, 0
	.set _ZN9rocsparseL12csrsv_kernelILj1024ELj64ELb0EllfEEvT3_NS_24const_host_device_scalarIT4_EEPKT2_PKS1_PKS3_SB_lPS3_PiS9_iPS1_21rocsparse_index_base_20rocsparse_fill_mode_20rocsparse_diag_type_b.private_seg_size, 0
	.set _ZN9rocsparseL12csrsv_kernelILj1024ELj64ELb0EllfEEvT3_NS_24const_host_device_scalarIT4_EEPKT2_PKS1_PKS3_SB_lPS3_PiS9_iPS1_21rocsparse_index_base_20rocsparse_fill_mode_20rocsparse_diag_type_b.uses_vcc, 1
	.set _ZN9rocsparseL12csrsv_kernelILj1024ELj64ELb0EllfEEvT3_NS_24const_host_device_scalarIT4_EEPKT2_PKS1_PKS3_SB_lPS3_PiS9_iPS1_21rocsparse_index_base_20rocsparse_fill_mode_20rocsparse_diag_type_b.uses_flat_scratch, 0
	.set _ZN9rocsparseL12csrsv_kernelILj1024ELj64ELb0EllfEEvT3_NS_24const_host_device_scalarIT4_EEPKT2_PKS1_PKS3_SB_lPS3_PiS9_iPS1_21rocsparse_index_base_20rocsparse_fill_mode_20rocsparse_diag_type_b.has_dyn_sized_stack, 0
	.set _ZN9rocsparseL12csrsv_kernelILj1024ELj64ELb0EllfEEvT3_NS_24const_host_device_scalarIT4_EEPKT2_PKS1_PKS3_SB_lPS3_PiS9_iPS1_21rocsparse_index_base_20rocsparse_fill_mode_20rocsparse_diag_type_b.has_recursion, 0
	.set _ZN9rocsparseL12csrsv_kernelILj1024ELj64ELb0EllfEEvT3_NS_24const_host_device_scalarIT4_EEPKT2_PKS1_PKS3_SB_lPS3_PiS9_iPS1_21rocsparse_index_base_20rocsparse_fill_mode_20rocsparse_diag_type_b.has_indirect_call, 0
	.section	.AMDGPU.csdata,"",@progbits
; Kernel info:
; codeLenInByte = 1524
; TotalNumSgprs: 31
; NumVgprs: 13
; ScratchSize: 0
; MemoryBound: 0
; FloatMode: 240
; IeeeMode: 1
; LDSByteSize: 64 bytes/workgroup (compile time only)
; SGPRBlocks: 0
; VGPRBlocks: 1
; NumSGPRsForWavesPerEU: 31
; NumVGPRsForWavesPerEU: 13
; Occupancy: 16
; WaveLimiterHint : 1
; COMPUTE_PGM_RSRC2:SCRATCH_EN: 0
; COMPUTE_PGM_RSRC2:USER_SGPR: 6
; COMPUTE_PGM_RSRC2:TRAP_HANDLER: 0
; COMPUTE_PGM_RSRC2:TGID_X_EN: 1
; COMPUTE_PGM_RSRC2:TGID_Y_EN: 0
; COMPUTE_PGM_RSRC2:TGID_Z_EN: 0
; COMPUTE_PGM_RSRC2:TIDIG_COMP_CNT: 0
	.section	.text._ZN9rocsparseL12csrsv_kernelILj1024ELj64ELb1ElldEEvT3_NS_24const_host_device_scalarIT4_EEPKT2_PKS1_PKS3_SB_lPS3_PiS9_iPS1_21rocsparse_index_base_20rocsparse_fill_mode_20rocsparse_diag_type_b,"axG",@progbits,_ZN9rocsparseL12csrsv_kernelILj1024ELj64ELb1ElldEEvT3_NS_24const_host_device_scalarIT4_EEPKT2_PKS1_PKS3_SB_lPS3_PiS9_iPS1_21rocsparse_index_base_20rocsparse_fill_mode_20rocsparse_diag_type_b,comdat
	.globl	_ZN9rocsparseL12csrsv_kernelILj1024ELj64ELb1ElldEEvT3_NS_24const_host_device_scalarIT4_EEPKT2_PKS1_PKS3_SB_lPS3_PiS9_iPS1_21rocsparse_index_base_20rocsparse_fill_mode_20rocsparse_diag_type_b ; -- Begin function _ZN9rocsparseL12csrsv_kernelILj1024ELj64ELb1ElldEEvT3_NS_24const_host_device_scalarIT4_EEPKT2_PKS1_PKS3_SB_lPS3_PiS9_iPS1_21rocsparse_index_base_20rocsparse_fill_mode_20rocsparse_diag_type_b
	.p2align	8
	.type	_ZN9rocsparseL12csrsv_kernelILj1024ELj64ELb1ElldEEvT3_NS_24const_host_device_scalarIT4_EEPKT2_PKS1_PKS3_SB_lPS3_PiS9_iPS1_21rocsparse_index_base_20rocsparse_fill_mode_20rocsparse_diag_type_b,@function
_ZN9rocsparseL12csrsv_kernelILj1024ELj64ELb1ElldEEvT3_NS_24const_host_device_scalarIT4_EEPKT2_PKS1_PKS3_SB_lPS3_PiS9_iPS1_21rocsparse_index_base_20rocsparse_fill_mode_20rocsparse_diag_type_b: ; @_ZN9rocsparseL12csrsv_kernelILj1024ELj64ELb1ElldEEvT3_NS_24const_host_device_scalarIT4_EEPKT2_PKS1_PKS3_SB_lPS3_PiS9_iPS1_21rocsparse_index_base_20rocsparse_fill_mode_20rocsparse_diag_type_b
; %bb.0:
	s_clause 0x1
	s_load_dwordx4 s[8:11], s[4:5], 0x60
	s_load_dwordx4 s[0:3], s[4:5], 0x0
	s_waitcnt lgkmcnt(0)
	s_bitcmp1_b32 s11, 0
	v_mov_b32_e32 v2, s2
	v_mov_b32_e32 v3, s3
	s_cselect_b32 s7, -1, 0
	s_and_b32 vcc_lo, exec_lo, s7
	s_cbranch_vccnz .LBB27_2
; %bb.1:
	v_mov_b32_e32 v1, s2
	v_mov_b32_e32 v2, s3
	flat_load_dwordx2 v[2:3], v[1:2]
.LBB27_2:
	v_readfirstlane_b32 s2, v0
	s_lshl_b32 s3, s6, 4
	s_lshr_b32 s11, s2, 6
	s_add_i32 s2, s11, s3
	s_mov_b32 s3, 0
	v_cmp_le_i64_e64 s0, s[0:1], s[2:3]
	s_and_b32 vcc_lo, exec_lo, s0
	s_cbranch_vccnz .LBB27_49
; %bb.3:
	s_clause 0x1
	s_load_dword s0, s[4:5], 0x50
	s_load_dwordx2 s[6:7], s[4:5], 0x48
	s_lshl_b64 s[2:3], s[2:3], 3
	v_and_b32_e32 v10, 63, v0
	v_mov_b32_e32 v0, 0
	v_mov_b32_e32 v1, 0
	s_waitcnt lgkmcnt(0)
	s_ashr_i32 s1, s0, 31
	s_add_u32 s2, s6, s2
	s_addc_u32 s3, s7, s3
	s_lshl_b64 s[0:1], s[0:1], 3
	s_mov_b32 s6, exec_lo
	s_add_u32 s0, s2, s0
	s_addc_u32 s1, s3, s1
	s_load_dwordx2 s[16:17], s[0:1], 0x0
	s_load_dwordx2 s[0:1], s[4:5], 0x10
	s_waitcnt lgkmcnt(0)
	s_lshl_b64 s[18:19], s[16:17], 3
	s_add_u32 s0, s0, s18
	s_addc_u32 s1, s1, s19
	s_load_dwordx4 s[12:15], s[4:5], 0x38
	s_load_dwordx4 s[0:3], s[0:1], 0x0
	v_cmpx_eq_u32_e32 0, v10
	s_cbranch_execz .LBB27_5
; %bb.4:
	s_load_dwordx4 s[20:23], s[4:5], 0x28
	s_waitcnt lgkmcnt(0)
	s_mul_i32 s7, s16, s23
	s_mul_hi_u32 s23, s16, s22
	s_mul_i32 s24, s17, s22
	s_add_i32 s7, s23, s7
	s_mul_i32 s22, s16, s22
	s_add_i32 s23, s7, s24
	s_lshl_b64 s[22:23], s[22:23], 3
	s_add_u32 s20, s20, s22
	s_addc_u32 s21, s21, s23
	s_load_dwordx2 s[20:21], s[20:21], 0x0
	s_waitcnt vmcnt(0) lgkmcnt(0)
	v_mul_f64 v[0:1], v[2:3], s[20:21]
.LBB27_5:
	s_or_b32 exec_lo, exec_lo, s6
	s_waitcnt vmcnt(0)
	v_sub_co_u32 v2, s6, v10, s8
	v_sub_co_ci_u32_e64 v3, null, 0, 0, s6
	v_mov_b32_e32 v11, 0
	s_waitcnt lgkmcnt(0)
	v_add_co_u32 v2, vcc_lo, s0, v2
	v_add_co_ci_u32_e64 v3, null, s1, v3, vcc_lo
	s_sub_u32 s2, s2, s8
	s_subb_u32 s3, s3, 0
	s_mov_b32 s25, 0
	s_mov_b32 s24, exec_lo
	v_cmpx_gt_i64_e64 s[2:3], v[2:3]
	s_cbranch_execz .LBB27_45
; %bb.6:
	s_clause 0x1
	s_load_dwordx2 s[20:21], s[4:5], 0x58
	s_load_dwordx4 s[4:7], s[4:5], 0x18
	s_cmp_eq_u32 s10, 0
	s_cselect_b32 s26, -1, 0
	s_add_u32 s22, s16, s8
	s_addc_u32 s23, s17, 0
	s_lshl_b32 s27, s11, 3
	s_branch .LBB27_8
.LBB27_7:                               ;   in Loop: Header=BB27_8 Depth=1
	s_or_b32 exec_lo, exec_lo, s1
	s_and_b32 s0, exec_lo, s0
	s_or_b32 s25, s0, s25
	s_andn2_b32 exec_lo, exec_lo, s25
	s_cbranch_execz .LBB27_44
.LBB27_8:                               ; =>This Loop Header: Depth=1
                                        ;     Child Loop BB27_33 Depth 2
                                        ;       Child Loop BB27_34 Depth 3
	v_lshlrev_b64 v[6:7], 3, v[2:3]
	s_waitcnt lgkmcnt(0)
	v_add_co_u32 v4, vcc_lo, s6, v6
	v_add_co_ci_u32_e64 v5, null, s7, v7, vcc_lo
	v_add_co_u32 v6, vcc_lo, s4, v6
	v_add_co_ci_u32_e64 v7, null, s5, v7, vcc_lo
	global_load_dwordx2 v[4:5], v[4:5], off slc
	global_load_dwordx2 v[6:7], v[6:7], off slc
	s_waitcnt vmcnt(1)
	v_cmp_eq_f64_e64 s1, 0, v[4:5]
	s_waitcnt vmcnt(0)
	v_sub_co_u32 v6, vcc_lo, v6, s8
	v_subrev_co_ci_u32_e64 v7, null, 0, v7, vcc_lo
	v_cmp_eq_u64_e32 vcc_lo, s[16:17], v[6:7]
	v_cmp_ne_u64_e64 s0, s[16:17], v[6:7]
	s_and_b32 s28, s26, vcc_lo
	s_and_b32 s1, s1, s28
	s_and_saveexec_b32 s28, s1
	s_cbranch_execz .LBB27_12
; %bb.9:                                ;   in Loop: Header=BB27_8 Depth=1
	v_mbcnt_lo_u32_b32 v4, exec_lo, 0
	s_mov_b32 s29, exec_lo
	v_cmpx_eq_u32_e32 0, v4
	s_cbranch_execz .LBB27_11
; %bb.10:                               ;   in Loop: Header=BB27_8 Depth=1
	v_mov_b32_e32 v4, s22
	v_mov_b32_e32 v5, s23
	global_atomic_umin_x2 v11, v[4:5], s[20:21]
.LBB27_11:                              ;   in Loop: Header=BB27_8 Depth=1
	s_or_b32 exec_lo, exec_lo, s29
	v_mov_b32_e32 v4, 0
	v_mov_b32_e32 v5, 0x3ff00000
.LBB27_12:                              ;   in Loop: Header=BB27_8 Depth=1
	s_or_b32 exec_lo, exec_lo, s28
	s_mov_b32 s1, -1
	s_mov_b32 s28, 0
	s_cmp_lt_i32 s9, 1
	s_mov_b32 s29, 0
	s_cbranch_scc1 .LBB27_22
; %bb.13:                               ;   in Loop: Header=BB27_8 Depth=1
	s_cmp_eq_u32 s9, 1
	s_mov_b32 s29, -1
	s_cbranch_scc0 .LBB27_21
; %bb.14:                               ;   in Loop: Header=BB27_8 Depth=1
	s_mov_b32 s29, 0
	s_mov_b32 s30, exec_lo
	v_cmpx_le_i64_e64 s[16:17], v[6:7]
	s_cbranch_execz .LBB27_20
; %bb.15:                               ;   in Loop: Header=BB27_8 Depth=1
	s_mov_b32 s29, -1
	s_and_saveexec_b32 s1, vcc_lo
	s_xor_b32 s1, exec_lo, s1
	s_cbranch_execz .LBB27_19
; %bb.16:                               ;   in Loop: Header=BB27_8 Depth=1
	s_andn2_b32 vcc_lo, exec_lo, s26
	s_cbranch_vccnz .LBB27_18
; %bb.17:                               ;   in Loop: Header=BB27_8 Depth=1
	v_div_scale_f64 v[8:9], null, v[4:5], v[4:5], 1.0
	v_rcp_f64_e32 v[12:13], v[8:9]
	v_fma_f64 v[14:15], -v[8:9], v[12:13], 1.0
	v_fma_f64 v[12:13], v[12:13], v[14:15], v[12:13]
	v_fma_f64 v[14:15], -v[8:9], v[12:13], 1.0
	v_fma_f64 v[12:13], v[12:13], v[14:15], v[12:13]
	v_div_scale_f64 v[14:15], vcc_lo, 1.0, v[4:5], 1.0
	v_mul_f64 v[16:17], v[14:15], v[12:13]
	v_fma_f64 v[8:9], -v[8:9], v[16:17], v[14:15]
	v_div_fmas_f64 v[8:9], v[8:9], v[12:13], v[16:17]
	v_mov_b32_e32 v12, s27
	v_div_fixup_f64 v[8:9], v[8:9], v[4:5], 1.0
	ds_write_b64 v12, v[8:9]
.LBB27_18:                              ;   in Loop: Header=BB27_8 Depth=1
	s_xor_b32 s29, exec_lo, -1
.LBB27_19:                              ;   in Loop: Header=BB27_8 Depth=1
	s_or_b32 exec_lo, exec_lo, s1
	s_and_b32 s29, s29, exec_lo
.LBB27_20:                              ;   in Loop: Header=BB27_8 Depth=1
	s_or_b32 exec_lo, exec_lo, s30
.LBB27_21:                              ;   in Loop: Header=BB27_8 Depth=1
	s_mov_b32 s1, 0
.LBB27_22:                              ;   in Loop: Header=BB27_8 Depth=1
	s_and_b32 vcc_lo, exec_lo, s1
	s_mov_b32 s1, 4
	s_cbranch_vccz .LBB27_29
; %bb.23:                               ;   in Loop: Header=BB27_8 Depth=1
	s_cmp_eq_u32 s9, 0
	s_cbranch_scc1 .LBB27_25
; %bb.24:                               ;   in Loop: Header=BB27_8 Depth=1
	s_mov_b32 s29, -1
	s_branch .LBB27_28
.LBB27_25:                              ;   in Loop: Header=BB27_8 Depth=1
	s_mov_b32 s29, 0
	s_mov_b32 s1, exec_lo
	v_cmpx_ge_i64_e64 s[16:17], v[6:7]
; %bb.26:                               ;   in Loop: Header=BB27_8 Depth=1
	s_mov_b32 s28, exec_lo
	s_and_b32 s29, s0, exec_lo
; %bb.27:                               ;   in Loop: Header=BB27_8 Depth=1
	s_or_b32 exec_lo, exec_lo, s1
.LBB27_28:                              ;   in Loop: Header=BB27_8 Depth=1
	s_mov_b32 s1, 2
.LBB27_29:                              ;   in Loop: Header=BB27_8 Depth=1
	v_mov_b32_e32 v9, v1
	v_mov_b32_e32 v12, s1
	;; [unrolled: 1-line block ×3, first 2 shown]
	s_and_saveexec_b32 s0, s29
	s_cbranch_execz .LBB27_36
; %bb.30:                               ;   in Loop: Header=BB27_8 Depth=1
	v_lshlrev_b64 v[8:9], 2, v[6:7]
	s_mov_b32 s1, exec_lo
	v_add_co_u32 v8, vcc_lo, s14, v8
	v_add_co_ci_u32_e64 v9, null, s15, v9, vcc_lo
	global_load_dword v12, v[8:9], off glc dlc
	s_waitcnt vmcnt(0)
	v_cmpx_eq_u32_e32 0, v12
	s_cbranch_execz .LBB27_35
; %bb.31:                               ;   in Loop: Header=BB27_8 Depth=1
	s_mov_b32 s29, 0
	s_mov_b32 s30, 0
	s_branch .LBB27_33
	.p2align	6
.LBB27_32:                              ;   in Loop: Header=BB27_33 Depth=2
	global_load_dword v12, v[8:9], off glc dlc
	s_cmpk_lt_u32 s30, 0xf43
	s_cselect_b32 s31, -1, 0
	s_cmp_lg_u32 s31, 0
	s_addc_u32 s30, s30, 0
	s_waitcnt vmcnt(0)
	v_cmp_ne_u32_e32 vcc_lo, 0, v12
	s_or_b32 s29, vcc_lo, s29
	s_andn2_b32 exec_lo, exec_lo, s29
	s_cbranch_execz .LBB27_35
.LBB27_33:                              ;   Parent Loop BB27_8 Depth=1
                                        ; =>  This Loop Header: Depth=2
                                        ;       Child Loop BB27_34 Depth 3
	s_cmp_eq_u32 s30, 0
	s_mov_b32 s31, s30
	s_cbranch_scc1 .LBB27_32
.LBB27_34:                              ;   Parent Loop BB27_8 Depth=1
                                        ;     Parent Loop BB27_33 Depth=2
                                        ; =>    This Inner Loop Header: Depth=3
	s_add_i32 s31, s31, -1
	s_sleep 1
	s_cmp_eq_u32 s31, 0
	s_cbranch_scc0 .LBB27_34
	s_branch .LBB27_32
.LBB27_35:                              ;   in Loop: Header=BB27_8 Depth=1
	s_or_b32 exec_lo, exec_lo, s1
	v_lshlrev_b64 v[6:7], 3, v[6:7]
	s_waitcnt lgkmcnt(0)
	s_waitcnt_vscnt null, 0x0
	buffer_gl1_inv
	buffer_gl0_inv
	v_mov_b32_e32 v12, 0
	s_andn2_b32 s28, s28, exec_lo
	v_add_co_u32 v6, vcc_lo, s12, v6
	v_add_co_ci_u32_e64 v7, null, s13, v7, vcc_lo
	global_load_dwordx2 v[6:7], v[6:7], off
	s_waitcnt vmcnt(0)
	v_fma_f64 v[8:9], -v[4:5], v[6:7], v[0:1]
.LBB27_36:                              ;   in Loop: Header=BB27_8 Depth=1
	s_or_b32 exec_lo, exec_lo, s0
	s_and_saveexec_b32 s0, s28
	s_cbranch_execz .LBB27_40
; %bb.37:                               ;   in Loop: Header=BB27_8 Depth=1
	s_andn2_b32 vcc_lo, exec_lo, s26
	s_cbranch_vccnz .LBB27_39
; %bb.38:                               ;   in Loop: Header=BB27_8 Depth=1
	v_div_scale_f64 v[6:7], null, v[4:5], v[4:5], 1.0
	v_rcp_f64_e32 v[8:9], v[6:7]
	v_fma_f64 v[12:13], -v[6:7], v[8:9], 1.0
	v_fma_f64 v[8:9], v[8:9], v[12:13], v[8:9]
	v_fma_f64 v[12:13], -v[6:7], v[8:9], 1.0
	v_fma_f64 v[8:9], v[8:9], v[12:13], v[8:9]
	v_div_scale_f64 v[12:13], vcc_lo, 1.0, v[4:5], 1.0
	v_mul_f64 v[14:15], v[12:13], v[8:9]
	v_fma_f64 v[6:7], -v[6:7], v[14:15], v[12:13]
	v_div_fmas_f64 v[6:7], v[6:7], v[8:9], v[14:15]
	v_div_fixup_f64 v[4:5], v[6:7], v[4:5], 1.0
	v_mov_b32_e32 v6, s27
	ds_write_b64 v6, v[4:5]
.LBB27_39:                              ;   in Loop: Header=BB27_8 Depth=1
	v_mov_b32_e32 v9, v1
	v_mov_b32_e32 v12, 2
	;; [unrolled: 1-line block ×3, first 2 shown]
.LBB27_40:                              ;   in Loop: Header=BB27_8 Depth=1
	s_or_b32 exec_lo, exec_lo, s0
	v_mov_b32_e32 v0, v8
	v_mov_b32_e32 v1, v9
	s_mov_b32 s0, -1
	s_mov_b32 s28, -1
	s_mov_b32 s1, exec_lo
	v_cmpx_gt_i32_e32 4, v12
; %bb.41:                               ;   in Loop: Header=BB27_8 Depth=1
	v_cmp_eq_u32_e32 vcc_lo, 0, v12
	s_orn2_b32 s28, vcc_lo, exec_lo
; %bb.42:                               ;   in Loop: Header=BB27_8 Depth=1
	s_or_b32 exec_lo, exec_lo, s1
	s_and_saveexec_b32 s1, s28
	s_cbranch_execz .LBB27_7
; %bb.43:                               ;   in Loop: Header=BB27_8 Depth=1
	v_add_co_u32 v2, vcc_lo, v2, 64
	v_add_co_ci_u32_e64 v3, null, 0, v3, vcc_lo
	v_cmp_le_i64_e32 vcc_lo, s[2:3], v[2:3]
	s_orn2_b32 s0, vcc_lo, exec_lo
	s_branch .LBB27_7
.LBB27_44:
	s_or_b32 exec_lo, exec_lo, s25
.LBB27_45:
	s_or_b32 exec_lo, exec_lo, s24
	v_mbcnt_lo_u32_b32 v4, -1, 0
	s_cmp_lg_u32 s10, 0
	v_or_b32_e32 v2, 32, v4
	v_cmp_gt_i32_e32 vcc_lo, 32, v2
	v_cndmask_b32_e32 v2, v4, v2, vcc_lo
	v_lshlrev_b32_e32 v3, 2, v2
	ds_bpermute_b32 v2, v3, v0
	ds_bpermute_b32 v3, v3, v1
	s_waitcnt lgkmcnt(0)
	v_add_f64 v[0:1], v[0:1], v[2:3]
	v_xor_b32_e32 v2, 16, v4
	v_cmp_gt_i32_e32 vcc_lo, 32, v2
	v_cndmask_b32_e32 v2, v4, v2, vcc_lo
	v_lshlrev_b32_e32 v3, 2, v2
	ds_bpermute_b32 v2, v3, v0
	ds_bpermute_b32 v3, v3, v1
	s_waitcnt lgkmcnt(0)
	v_add_f64 v[0:1], v[0:1], v[2:3]
	v_xor_b32_e32 v2, 8, v4
	;; [unrolled: 8-line block ×5, first 2 shown]
	v_cmp_gt_i32_e32 vcc_lo, 32, v2
	v_cndmask_b32_e32 v2, v4, v2, vcc_lo
	v_lshlrev_b32_e32 v3, 2, v2
	ds_bpermute_b32 v2, v3, v0
	ds_bpermute_b32 v3, v3, v1
	s_waitcnt lgkmcnt(0)
	v_add_f64 v[0:1], v[0:1], v[2:3]
	s_cbranch_scc1 .LBB27_47
; %bb.46:
	s_lshl_b32 s0, s11, 3
	s_waitcnt_vscnt null, 0x0
	buffer_gl0_inv
	v_mov_b32_e32 v2, s0
	ds_read_b64 v[2:3], v2
	s_waitcnt lgkmcnt(0)
	v_mul_f64 v[0:1], v[0:1], v[2:3]
.LBB27_47:
	s_mov_b32 s0, exec_lo
	v_cmpx_eq_u32_e32 63, v10
	s_cbranch_execz .LBB27_49
; %bb.48:
	s_add_u32 s0, s12, s18
	v_mov_b32_e32 v2, 0
	s_addc_u32 s1, s13, s19
	s_lshl_b64 s[2:3], s[16:17], 2
	v_mov_b32_e32 v3, 1
	s_add_u32 s2, s14, s2
	s_addc_u32 s3, s15, s3
	global_store_dwordx2 v2, v[0:1], s[0:1] glc slc
	s_waitcnt_vscnt null, 0x0
	global_store_dword v2, v3, s[2:3]
.LBB27_49:
	s_endpgm
	.section	.rodata,"a",@progbits
	.p2align	6, 0x0
	.amdhsa_kernel _ZN9rocsparseL12csrsv_kernelILj1024ELj64ELb1ElldEEvT3_NS_24const_host_device_scalarIT4_EEPKT2_PKS1_PKS3_SB_lPS3_PiS9_iPS1_21rocsparse_index_base_20rocsparse_fill_mode_20rocsparse_diag_type_b
		.amdhsa_group_segment_fixed_size 128
		.amdhsa_private_segment_fixed_size 0
		.amdhsa_kernarg_size 112
		.amdhsa_user_sgpr_count 6
		.amdhsa_user_sgpr_private_segment_buffer 1
		.amdhsa_user_sgpr_dispatch_ptr 0
		.amdhsa_user_sgpr_queue_ptr 0
		.amdhsa_user_sgpr_kernarg_segment_ptr 1
		.amdhsa_user_sgpr_dispatch_id 0
		.amdhsa_user_sgpr_flat_scratch_init 0
		.amdhsa_user_sgpr_private_segment_size 0
		.amdhsa_wavefront_size32 1
		.amdhsa_uses_dynamic_stack 0
		.amdhsa_system_sgpr_private_segment_wavefront_offset 0
		.amdhsa_system_sgpr_workgroup_id_x 1
		.amdhsa_system_sgpr_workgroup_id_y 0
		.amdhsa_system_sgpr_workgroup_id_z 0
		.amdhsa_system_sgpr_workgroup_info 0
		.amdhsa_system_vgpr_workitem_id 0
		.amdhsa_next_free_vgpr 18
		.amdhsa_next_free_sgpr 32
		.amdhsa_reserve_vcc 1
		.amdhsa_reserve_flat_scratch 0
		.amdhsa_float_round_mode_32 0
		.amdhsa_float_round_mode_16_64 0
		.amdhsa_float_denorm_mode_32 3
		.amdhsa_float_denorm_mode_16_64 3
		.amdhsa_dx10_clamp 1
		.amdhsa_ieee_mode 1
		.amdhsa_fp16_overflow 0
		.amdhsa_workgroup_processor_mode 1
		.amdhsa_memory_ordered 1
		.amdhsa_forward_progress 1
		.amdhsa_shared_vgpr_count 0
		.amdhsa_exception_fp_ieee_invalid_op 0
		.amdhsa_exception_fp_denorm_src 0
		.amdhsa_exception_fp_ieee_div_zero 0
		.amdhsa_exception_fp_ieee_overflow 0
		.amdhsa_exception_fp_ieee_underflow 0
		.amdhsa_exception_fp_ieee_inexact 0
		.amdhsa_exception_int_div_zero 0
	.end_amdhsa_kernel
	.section	.text._ZN9rocsparseL12csrsv_kernelILj1024ELj64ELb1ElldEEvT3_NS_24const_host_device_scalarIT4_EEPKT2_PKS1_PKS3_SB_lPS3_PiS9_iPS1_21rocsparse_index_base_20rocsparse_fill_mode_20rocsparse_diag_type_b,"axG",@progbits,_ZN9rocsparseL12csrsv_kernelILj1024ELj64ELb1ElldEEvT3_NS_24const_host_device_scalarIT4_EEPKT2_PKS1_PKS3_SB_lPS3_PiS9_iPS1_21rocsparse_index_base_20rocsparse_fill_mode_20rocsparse_diag_type_b,comdat
.Lfunc_end27:
	.size	_ZN9rocsparseL12csrsv_kernelILj1024ELj64ELb1ElldEEvT3_NS_24const_host_device_scalarIT4_EEPKT2_PKS1_PKS3_SB_lPS3_PiS9_iPS1_21rocsparse_index_base_20rocsparse_fill_mode_20rocsparse_diag_type_b, .Lfunc_end27-_ZN9rocsparseL12csrsv_kernelILj1024ELj64ELb1ElldEEvT3_NS_24const_host_device_scalarIT4_EEPKT2_PKS1_PKS3_SB_lPS3_PiS9_iPS1_21rocsparse_index_base_20rocsparse_fill_mode_20rocsparse_diag_type_b
                                        ; -- End function
	.set _ZN9rocsparseL12csrsv_kernelILj1024ELj64ELb1ElldEEvT3_NS_24const_host_device_scalarIT4_EEPKT2_PKS1_PKS3_SB_lPS3_PiS9_iPS1_21rocsparse_index_base_20rocsparse_fill_mode_20rocsparse_diag_type_b.num_vgpr, 18
	.set _ZN9rocsparseL12csrsv_kernelILj1024ELj64ELb1ElldEEvT3_NS_24const_host_device_scalarIT4_EEPKT2_PKS1_PKS3_SB_lPS3_PiS9_iPS1_21rocsparse_index_base_20rocsparse_fill_mode_20rocsparse_diag_type_b.num_agpr, 0
	.set _ZN9rocsparseL12csrsv_kernelILj1024ELj64ELb1ElldEEvT3_NS_24const_host_device_scalarIT4_EEPKT2_PKS1_PKS3_SB_lPS3_PiS9_iPS1_21rocsparse_index_base_20rocsparse_fill_mode_20rocsparse_diag_type_b.numbered_sgpr, 32
	.set _ZN9rocsparseL12csrsv_kernelILj1024ELj64ELb1ElldEEvT3_NS_24const_host_device_scalarIT4_EEPKT2_PKS1_PKS3_SB_lPS3_PiS9_iPS1_21rocsparse_index_base_20rocsparse_fill_mode_20rocsparse_diag_type_b.num_named_barrier, 0
	.set _ZN9rocsparseL12csrsv_kernelILj1024ELj64ELb1ElldEEvT3_NS_24const_host_device_scalarIT4_EEPKT2_PKS1_PKS3_SB_lPS3_PiS9_iPS1_21rocsparse_index_base_20rocsparse_fill_mode_20rocsparse_diag_type_b.private_seg_size, 0
	.set _ZN9rocsparseL12csrsv_kernelILj1024ELj64ELb1ElldEEvT3_NS_24const_host_device_scalarIT4_EEPKT2_PKS1_PKS3_SB_lPS3_PiS9_iPS1_21rocsparse_index_base_20rocsparse_fill_mode_20rocsparse_diag_type_b.uses_vcc, 1
	.set _ZN9rocsparseL12csrsv_kernelILj1024ELj64ELb1ElldEEvT3_NS_24const_host_device_scalarIT4_EEPKT2_PKS1_PKS3_SB_lPS3_PiS9_iPS1_21rocsparse_index_base_20rocsparse_fill_mode_20rocsparse_diag_type_b.uses_flat_scratch, 0
	.set _ZN9rocsparseL12csrsv_kernelILj1024ELj64ELb1ElldEEvT3_NS_24const_host_device_scalarIT4_EEPKT2_PKS1_PKS3_SB_lPS3_PiS9_iPS1_21rocsparse_index_base_20rocsparse_fill_mode_20rocsparse_diag_type_b.has_dyn_sized_stack, 0
	.set _ZN9rocsparseL12csrsv_kernelILj1024ELj64ELb1ElldEEvT3_NS_24const_host_device_scalarIT4_EEPKT2_PKS1_PKS3_SB_lPS3_PiS9_iPS1_21rocsparse_index_base_20rocsparse_fill_mode_20rocsparse_diag_type_b.has_recursion, 0
	.set _ZN9rocsparseL12csrsv_kernelILj1024ELj64ELb1ElldEEvT3_NS_24const_host_device_scalarIT4_EEPKT2_PKS1_PKS3_SB_lPS3_PiS9_iPS1_21rocsparse_index_base_20rocsparse_fill_mode_20rocsparse_diag_type_b.has_indirect_call, 0
	.section	.AMDGPU.csdata,"",@progbits
; Kernel info:
; codeLenInByte = 1712
; TotalNumSgprs: 34
; NumVgprs: 18
; ScratchSize: 0
; MemoryBound: 0
; FloatMode: 240
; IeeeMode: 1
; LDSByteSize: 128 bytes/workgroup (compile time only)
; SGPRBlocks: 0
; VGPRBlocks: 2
; NumSGPRsForWavesPerEU: 34
; NumVGPRsForWavesPerEU: 18
; Occupancy: 16
; WaveLimiterHint : 1
; COMPUTE_PGM_RSRC2:SCRATCH_EN: 0
; COMPUTE_PGM_RSRC2:USER_SGPR: 6
; COMPUTE_PGM_RSRC2:TRAP_HANDLER: 0
; COMPUTE_PGM_RSRC2:TGID_X_EN: 1
; COMPUTE_PGM_RSRC2:TGID_Y_EN: 0
; COMPUTE_PGM_RSRC2:TGID_Z_EN: 0
; COMPUTE_PGM_RSRC2:TIDIG_COMP_CNT: 0
	.section	.text._ZN9rocsparseL12csrsv_kernelILj1024ELj32ELb0ElldEEvT3_NS_24const_host_device_scalarIT4_EEPKT2_PKS1_PKS3_SB_lPS3_PiS9_iPS1_21rocsparse_index_base_20rocsparse_fill_mode_20rocsparse_diag_type_b,"axG",@progbits,_ZN9rocsparseL12csrsv_kernelILj1024ELj32ELb0ElldEEvT3_NS_24const_host_device_scalarIT4_EEPKT2_PKS1_PKS3_SB_lPS3_PiS9_iPS1_21rocsparse_index_base_20rocsparse_fill_mode_20rocsparse_diag_type_b,comdat
	.globl	_ZN9rocsparseL12csrsv_kernelILj1024ELj32ELb0ElldEEvT3_NS_24const_host_device_scalarIT4_EEPKT2_PKS1_PKS3_SB_lPS3_PiS9_iPS1_21rocsparse_index_base_20rocsparse_fill_mode_20rocsparse_diag_type_b ; -- Begin function _ZN9rocsparseL12csrsv_kernelILj1024ELj32ELb0ElldEEvT3_NS_24const_host_device_scalarIT4_EEPKT2_PKS1_PKS3_SB_lPS3_PiS9_iPS1_21rocsparse_index_base_20rocsparse_fill_mode_20rocsparse_diag_type_b
	.p2align	8
	.type	_ZN9rocsparseL12csrsv_kernelILj1024ELj32ELb0ElldEEvT3_NS_24const_host_device_scalarIT4_EEPKT2_PKS1_PKS3_SB_lPS3_PiS9_iPS1_21rocsparse_index_base_20rocsparse_fill_mode_20rocsparse_diag_type_b,@function
_ZN9rocsparseL12csrsv_kernelILj1024ELj32ELb0ElldEEvT3_NS_24const_host_device_scalarIT4_EEPKT2_PKS1_PKS3_SB_lPS3_PiS9_iPS1_21rocsparse_index_base_20rocsparse_fill_mode_20rocsparse_diag_type_b: ; @_ZN9rocsparseL12csrsv_kernelILj1024ELj32ELb0ElldEEvT3_NS_24const_host_device_scalarIT4_EEPKT2_PKS1_PKS3_SB_lPS3_PiS9_iPS1_21rocsparse_index_base_20rocsparse_fill_mode_20rocsparse_diag_type_b
; %bb.0:
	s_clause 0x1
	s_load_dwordx4 s[8:11], s[4:5], 0x60
	s_load_dwordx4 s[0:3], s[4:5], 0x0
	s_waitcnt lgkmcnt(0)
	s_bitcmp1_b32 s11, 0
	v_mov_b32_e32 v2, s2
	v_mov_b32_e32 v3, s3
	s_cselect_b32 s7, -1, 0
	s_and_b32 vcc_lo, exec_lo, s7
	s_cbranch_vccnz .LBB28_2
; %bb.1:
	v_mov_b32_e32 v1, s2
	v_mov_b32_e32 v2, s3
	flat_load_dwordx2 v[2:3], v[1:2]
.LBB28_2:
	v_readfirstlane_b32 s2, v0
	s_lshl_b32 s3, s6, 5
	s_lshr_b32 s11, s2, 5
	s_add_i32 s2, s11, s3
	s_mov_b32 s3, 0
	v_cmp_le_i64_e64 s0, s[0:1], s[2:3]
	s_and_b32 vcc_lo, exec_lo, s0
	s_cbranch_vccnz .LBB28_47
; %bb.3:
	s_clause 0x1
	s_load_dword s0, s[4:5], 0x50
	s_load_dwordx2 s[6:7], s[4:5], 0x48
	s_lshl_b64 s[2:3], s[2:3], 3
	v_and_b32_e32 v10, 31, v0
	v_mov_b32_e32 v0, 0
	v_mov_b32_e32 v1, 0
	s_waitcnt lgkmcnt(0)
	s_ashr_i32 s1, s0, 31
	s_add_u32 s2, s6, s2
	s_addc_u32 s3, s7, s3
	s_lshl_b64 s[0:1], s[0:1], 3
	s_mov_b32 s6, exec_lo
	s_add_u32 s0, s2, s0
	s_addc_u32 s1, s3, s1
	s_load_dwordx2 s[16:17], s[0:1], 0x0
	s_load_dwordx2 s[0:1], s[4:5], 0x10
	s_waitcnt lgkmcnt(0)
	s_lshl_b64 s[18:19], s[16:17], 3
	s_add_u32 s0, s0, s18
	s_addc_u32 s1, s1, s19
	s_load_dwordx4 s[12:15], s[4:5], 0x38
	s_load_dwordx4 s[0:3], s[0:1], 0x0
	v_cmpx_eq_u32_e32 0, v10
	s_cbranch_execz .LBB28_5
; %bb.4:
	s_load_dwordx4 s[20:23], s[4:5], 0x28
	s_waitcnt lgkmcnt(0)
	s_mul_i32 s7, s16, s23
	s_mul_hi_u32 s23, s16, s22
	s_mul_i32 s24, s17, s22
	s_add_i32 s7, s23, s7
	s_mul_i32 s22, s16, s22
	s_add_i32 s23, s7, s24
	s_lshl_b64 s[22:23], s[22:23], 3
	s_add_u32 s20, s20, s22
	s_addc_u32 s21, s21, s23
	s_load_dwordx2 s[20:21], s[20:21], 0x0
	s_waitcnt vmcnt(0) lgkmcnt(0)
	v_mul_f64 v[0:1], v[2:3], s[20:21]
.LBB28_5:
	s_or_b32 exec_lo, exec_lo, s6
	s_waitcnt vmcnt(0)
	v_sub_co_u32 v2, s6, v10, s8
	v_sub_co_ci_u32_e64 v3, null, 0, 0, s6
	v_mov_b32_e32 v11, 0
	s_waitcnt lgkmcnt(0)
	v_add_co_u32 v2, vcc_lo, s0, v2
	v_add_co_ci_u32_e64 v3, null, s1, v3, vcc_lo
	s_sub_u32 s2, s2, s8
	s_subb_u32 s3, s3, 0
	s_mov_b32 s25, 0
	s_mov_b32 s24, exec_lo
	v_cmpx_gt_i64_e64 s[2:3], v[2:3]
	s_cbranch_execz .LBB28_43
; %bb.6:
	s_clause 0x1
	s_load_dwordx2 s[20:21], s[4:5], 0x58
	s_load_dwordx4 s[4:7], s[4:5], 0x18
	s_cmp_eq_u32 s10, 0
	s_cselect_b32 s26, -1, 0
	s_add_u32 s22, s16, s8
	s_addc_u32 s23, s17, 0
	s_lshl_b32 s27, s11, 3
	s_branch .LBB28_8
.LBB28_7:                               ;   in Loop: Header=BB28_8 Depth=1
	s_or_b32 exec_lo, exec_lo, s1
	s_and_b32 s0, exec_lo, s0
	s_or_b32 s25, s0, s25
	s_andn2_b32 exec_lo, exec_lo, s25
	s_cbranch_execz .LBB28_42
.LBB28_8:                               ; =>This Loop Header: Depth=1
                                        ;     Child Loop BB28_32 Depth 2
	v_lshlrev_b64 v[6:7], 3, v[2:3]
	s_waitcnt lgkmcnt(0)
	v_add_co_u32 v4, vcc_lo, s6, v6
	v_add_co_ci_u32_e64 v5, null, s7, v7, vcc_lo
	v_add_co_u32 v6, vcc_lo, s4, v6
	v_add_co_ci_u32_e64 v7, null, s5, v7, vcc_lo
	global_load_dwordx2 v[4:5], v[4:5], off slc
	global_load_dwordx2 v[6:7], v[6:7], off slc
	s_waitcnt vmcnt(1)
	v_cmp_eq_f64_e64 s1, 0, v[4:5]
	s_waitcnt vmcnt(0)
	v_sub_co_u32 v6, vcc_lo, v6, s8
	v_subrev_co_ci_u32_e64 v7, null, 0, v7, vcc_lo
	v_cmp_eq_u64_e32 vcc_lo, s[16:17], v[6:7]
	v_cmp_ne_u64_e64 s0, s[16:17], v[6:7]
	s_and_b32 s28, s26, vcc_lo
	s_and_b32 s1, s1, s28
	s_and_saveexec_b32 s28, s1
	s_cbranch_execz .LBB28_12
; %bb.9:                                ;   in Loop: Header=BB28_8 Depth=1
	v_mbcnt_lo_u32_b32 v4, exec_lo, 0
	s_mov_b32 s29, exec_lo
	v_cmpx_eq_u32_e32 0, v4
	s_cbranch_execz .LBB28_11
; %bb.10:                               ;   in Loop: Header=BB28_8 Depth=1
	v_mov_b32_e32 v4, s22
	v_mov_b32_e32 v5, s23
	global_atomic_umin_x2 v11, v[4:5], s[20:21]
.LBB28_11:                              ;   in Loop: Header=BB28_8 Depth=1
	s_or_b32 exec_lo, exec_lo, s29
	v_mov_b32_e32 v4, 0
	v_mov_b32_e32 v5, 0x3ff00000
.LBB28_12:                              ;   in Loop: Header=BB28_8 Depth=1
	s_or_b32 exec_lo, exec_lo, s28
	s_mov_b32 s1, -1
	s_mov_b32 s28, 0
	s_cmp_lt_i32 s9, 1
	s_mov_b32 s29, 0
	s_cbranch_scc1 .LBB28_22
; %bb.13:                               ;   in Loop: Header=BB28_8 Depth=1
	s_cmp_eq_u32 s9, 1
	s_mov_b32 s29, -1
	s_cbranch_scc0 .LBB28_21
; %bb.14:                               ;   in Loop: Header=BB28_8 Depth=1
	s_mov_b32 s29, 0
	s_mov_b32 s30, exec_lo
	v_cmpx_le_i64_e64 s[16:17], v[6:7]
	s_cbranch_execz .LBB28_20
; %bb.15:                               ;   in Loop: Header=BB28_8 Depth=1
	s_mov_b32 s29, -1
	s_and_saveexec_b32 s1, vcc_lo
	s_xor_b32 s1, exec_lo, s1
	s_cbranch_execz .LBB28_19
; %bb.16:                               ;   in Loop: Header=BB28_8 Depth=1
	s_andn2_b32 vcc_lo, exec_lo, s26
	s_cbranch_vccnz .LBB28_18
; %bb.17:                               ;   in Loop: Header=BB28_8 Depth=1
	v_div_scale_f64 v[8:9], null, v[4:5], v[4:5], 1.0
	v_rcp_f64_e32 v[12:13], v[8:9]
	v_fma_f64 v[14:15], -v[8:9], v[12:13], 1.0
	v_fma_f64 v[12:13], v[12:13], v[14:15], v[12:13]
	v_fma_f64 v[14:15], -v[8:9], v[12:13], 1.0
	v_fma_f64 v[12:13], v[12:13], v[14:15], v[12:13]
	v_div_scale_f64 v[14:15], vcc_lo, 1.0, v[4:5], 1.0
	v_mul_f64 v[16:17], v[14:15], v[12:13]
	v_fma_f64 v[8:9], -v[8:9], v[16:17], v[14:15]
	v_div_fmas_f64 v[8:9], v[8:9], v[12:13], v[16:17]
	v_mov_b32_e32 v12, s27
	v_div_fixup_f64 v[8:9], v[8:9], v[4:5], 1.0
	ds_write_b64 v12, v[8:9]
.LBB28_18:                              ;   in Loop: Header=BB28_8 Depth=1
	s_xor_b32 s29, exec_lo, -1
.LBB28_19:                              ;   in Loop: Header=BB28_8 Depth=1
	s_or_b32 exec_lo, exec_lo, s1
	s_and_b32 s29, s29, exec_lo
.LBB28_20:                              ;   in Loop: Header=BB28_8 Depth=1
	s_or_b32 exec_lo, exec_lo, s30
.LBB28_21:                              ;   in Loop: Header=BB28_8 Depth=1
	s_mov_b32 s1, 0
.LBB28_22:                              ;   in Loop: Header=BB28_8 Depth=1
	s_and_b32 vcc_lo, exec_lo, s1
	s_mov_b32 s1, 4
	s_cbranch_vccz .LBB28_29
; %bb.23:                               ;   in Loop: Header=BB28_8 Depth=1
	s_cmp_eq_u32 s9, 0
	s_cbranch_scc1 .LBB28_25
; %bb.24:                               ;   in Loop: Header=BB28_8 Depth=1
	s_mov_b32 s29, -1
	s_branch .LBB28_28
.LBB28_25:                              ;   in Loop: Header=BB28_8 Depth=1
	s_mov_b32 s29, 0
	s_mov_b32 s1, exec_lo
	v_cmpx_ge_i64_e64 s[16:17], v[6:7]
; %bb.26:                               ;   in Loop: Header=BB28_8 Depth=1
	s_mov_b32 s28, exec_lo
	s_and_b32 s29, s0, exec_lo
; %bb.27:                               ;   in Loop: Header=BB28_8 Depth=1
	s_or_b32 exec_lo, exec_lo, s1
.LBB28_28:                              ;   in Loop: Header=BB28_8 Depth=1
	s_mov_b32 s1, 2
.LBB28_29:                              ;   in Loop: Header=BB28_8 Depth=1
	v_mov_b32_e32 v9, v1
	v_mov_b32_e32 v12, s1
	;; [unrolled: 1-line block ×3, first 2 shown]
	s_and_saveexec_b32 s0, s29
	s_cbranch_execz .LBB28_34
; %bb.30:                               ;   in Loop: Header=BB28_8 Depth=1
	v_lshlrev_b64 v[8:9], 2, v[6:7]
	s_mov_b32 s1, exec_lo
	v_add_co_u32 v8, vcc_lo, s14, v8
	v_add_co_ci_u32_e64 v9, null, s15, v9, vcc_lo
	global_load_dword v12, v[8:9], off glc dlc
	s_waitcnt vmcnt(0)
	v_cmpx_eq_u32_e32 0, v12
	s_cbranch_execz .LBB28_33
; %bb.31:                               ;   in Loop: Header=BB28_8 Depth=1
	s_mov_b32 s29, 0
.LBB28_32:                              ;   Parent Loop BB28_8 Depth=1
                                        ; =>  This Inner Loop Header: Depth=2
	global_load_dword v12, v[8:9], off glc dlc
	s_waitcnt vmcnt(0)
	v_cmp_ne_u32_e32 vcc_lo, 0, v12
	s_or_b32 s29, vcc_lo, s29
	s_andn2_b32 exec_lo, exec_lo, s29
	s_cbranch_execnz .LBB28_32
.LBB28_33:                              ;   in Loop: Header=BB28_8 Depth=1
	s_or_b32 exec_lo, exec_lo, s1
	v_lshlrev_b64 v[6:7], 3, v[6:7]
	s_waitcnt lgkmcnt(0)
	s_waitcnt_vscnt null, 0x0
	buffer_gl1_inv
	buffer_gl0_inv
	v_mov_b32_e32 v12, 0
	s_andn2_b32 s28, s28, exec_lo
	v_add_co_u32 v6, vcc_lo, s12, v6
	v_add_co_ci_u32_e64 v7, null, s13, v7, vcc_lo
	global_load_dwordx2 v[6:7], v[6:7], off
	s_waitcnt vmcnt(0)
	v_fma_f64 v[8:9], -v[4:5], v[6:7], v[0:1]
.LBB28_34:                              ;   in Loop: Header=BB28_8 Depth=1
	s_or_b32 exec_lo, exec_lo, s0
	s_and_saveexec_b32 s0, s28
	s_cbranch_execz .LBB28_38
; %bb.35:                               ;   in Loop: Header=BB28_8 Depth=1
	s_andn2_b32 vcc_lo, exec_lo, s26
	s_cbranch_vccnz .LBB28_37
; %bb.36:                               ;   in Loop: Header=BB28_8 Depth=1
	v_div_scale_f64 v[6:7], null, v[4:5], v[4:5], 1.0
	v_rcp_f64_e32 v[8:9], v[6:7]
	v_fma_f64 v[12:13], -v[6:7], v[8:9], 1.0
	v_fma_f64 v[8:9], v[8:9], v[12:13], v[8:9]
	v_fma_f64 v[12:13], -v[6:7], v[8:9], 1.0
	v_fma_f64 v[8:9], v[8:9], v[12:13], v[8:9]
	v_div_scale_f64 v[12:13], vcc_lo, 1.0, v[4:5], 1.0
	v_mul_f64 v[14:15], v[12:13], v[8:9]
	v_fma_f64 v[6:7], -v[6:7], v[14:15], v[12:13]
	v_div_fmas_f64 v[6:7], v[6:7], v[8:9], v[14:15]
	v_div_fixup_f64 v[4:5], v[6:7], v[4:5], 1.0
	v_mov_b32_e32 v6, s27
	ds_write_b64 v6, v[4:5]
.LBB28_37:                              ;   in Loop: Header=BB28_8 Depth=1
	v_mov_b32_e32 v9, v1
	v_mov_b32_e32 v12, 2
	;; [unrolled: 1-line block ×3, first 2 shown]
.LBB28_38:                              ;   in Loop: Header=BB28_8 Depth=1
	s_or_b32 exec_lo, exec_lo, s0
	v_mov_b32_e32 v0, v8
	v_mov_b32_e32 v1, v9
	s_mov_b32 s0, -1
	s_mov_b32 s28, -1
	s_mov_b32 s1, exec_lo
	v_cmpx_gt_i32_e32 4, v12
; %bb.39:                               ;   in Loop: Header=BB28_8 Depth=1
	v_cmp_eq_u32_e32 vcc_lo, 0, v12
	s_orn2_b32 s28, vcc_lo, exec_lo
; %bb.40:                               ;   in Loop: Header=BB28_8 Depth=1
	s_or_b32 exec_lo, exec_lo, s1
	s_and_saveexec_b32 s1, s28
	s_cbranch_execz .LBB28_7
; %bb.41:                               ;   in Loop: Header=BB28_8 Depth=1
	v_add_co_u32 v2, vcc_lo, v2, 32
	v_add_co_ci_u32_e64 v3, null, 0, v3, vcc_lo
	v_cmp_le_i64_e32 vcc_lo, s[2:3], v[2:3]
	s_orn2_b32 s0, vcc_lo, exec_lo
	s_branch .LBB28_7
.LBB28_42:
	s_or_b32 exec_lo, exec_lo, s25
.LBB28_43:
	s_or_b32 exec_lo, exec_lo, s24
	v_mbcnt_lo_u32_b32 v4, -1, 0
	s_cmp_lg_u32 s10, 0
	v_xor_b32_e32 v2, 16, v4
	v_cmp_gt_i32_e32 vcc_lo, 32, v2
	v_cndmask_b32_e32 v2, v4, v2, vcc_lo
	v_lshlrev_b32_e32 v3, 2, v2
	ds_bpermute_b32 v2, v3, v0
	ds_bpermute_b32 v3, v3, v1
	s_waitcnt lgkmcnt(0)
	v_add_f64 v[0:1], v[0:1], v[2:3]
	v_xor_b32_e32 v2, 8, v4
	v_cmp_gt_i32_e32 vcc_lo, 32, v2
	v_cndmask_b32_e32 v2, v4, v2, vcc_lo
	v_lshlrev_b32_e32 v3, 2, v2
	ds_bpermute_b32 v2, v3, v0
	ds_bpermute_b32 v3, v3, v1
	s_waitcnt lgkmcnt(0)
	v_add_f64 v[0:1], v[0:1], v[2:3]
	;; [unrolled: 8-line block ×5, first 2 shown]
	s_cbranch_scc1 .LBB28_45
; %bb.44:
	s_lshl_b32 s0, s11, 3
	s_waitcnt_vscnt null, 0x0
	buffer_gl0_inv
	v_mov_b32_e32 v2, s0
	ds_read_b64 v[2:3], v2
	s_waitcnt lgkmcnt(0)
	v_mul_f64 v[0:1], v[0:1], v[2:3]
.LBB28_45:
	s_mov_b32 s0, exec_lo
	v_cmpx_eq_u32_e32 31, v10
	s_cbranch_execz .LBB28_47
; %bb.46:
	s_add_u32 s0, s12, s18
	v_mov_b32_e32 v2, 0
	s_addc_u32 s1, s13, s19
	s_lshl_b64 s[2:3], s[16:17], 2
	v_mov_b32_e32 v3, 1
	s_add_u32 s2, s14, s2
	s_addc_u32 s3, s15, s3
	global_store_dwordx2 v2, v[0:1], s[0:1] glc slc
	s_waitcnt_vscnt null, 0x0
	global_store_dword v2, v3, s[2:3]
.LBB28_47:
	s_endpgm
	.section	.rodata,"a",@progbits
	.p2align	6, 0x0
	.amdhsa_kernel _ZN9rocsparseL12csrsv_kernelILj1024ELj32ELb0ElldEEvT3_NS_24const_host_device_scalarIT4_EEPKT2_PKS1_PKS3_SB_lPS3_PiS9_iPS1_21rocsparse_index_base_20rocsparse_fill_mode_20rocsparse_diag_type_b
		.amdhsa_group_segment_fixed_size 256
		.amdhsa_private_segment_fixed_size 0
		.amdhsa_kernarg_size 112
		.amdhsa_user_sgpr_count 6
		.amdhsa_user_sgpr_private_segment_buffer 1
		.amdhsa_user_sgpr_dispatch_ptr 0
		.amdhsa_user_sgpr_queue_ptr 0
		.amdhsa_user_sgpr_kernarg_segment_ptr 1
		.amdhsa_user_sgpr_dispatch_id 0
		.amdhsa_user_sgpr_flat_scratch_init 0
		.amdhsa_user_sgpr_private_segment_size 0
		.amdhsa_wavefront_size32 1
		.amdhsa_uses_dynamic_stack 0
		.amdhsa_system_sgpr_private_segment_wavefront_offset 0
		.amdhsa_system_sgpr_workgroup_id_x 1
		.amdhsa_system_sgpr_workgroup_id_y 0
		.amdhsa_system_sgpr_workgroup_id_z 0
		.amdhsa_system_sgpr_workgroup_info 0
		.amdhsa_system_vgpr_workitem_id 0
		.amdhsa_next_free_vgpr 18
		.amdhsa_next_free_sgpr 31
		.amdhsa_reserve_vcc 1
		.amdhsa_reserve_flat_scratch 0
		.amdhsa_float_round_mode_32 0
		.amdhsa_float_round_mode_16_64 0
		.amdhsa_float_denorm_mode_32 3
		.amdhsa_float_denorm_mode_16_64 3
		.amdhsa_dx10_clamp 1
		.amdhsa_ieee_mode 1
		.amdhsa_fp16_overflow 0
		.amdhsa_workgroup_processor_mode 1
		.amdhsa_memory_ordered 1
		.amdhsa_forward_progress 1
		.amdhsa_shared_vgpr_count 0
		.amdhsa_exception_fp_ieee_invalid_op 0
		.amdhsa_exception_fp_denorm_src 0
		.amdhsa_exception_fp_ieee_div_zero 0
		.amdhsa_exception_fp_ieee_overflow 0
		.amdhsa_exception_fp_ieee_underflow 0
		.amdhsa_exception_fp_ieee_inexact 0
		.amdhsa_exception_int_div_zero 0
	.end_amdhsa_kernel
	.section	.text._ZN9rocsparseL12csrsv_kernelILj1024ELj32ELb0ElldEEvT3_NS_24const_host_device_scalarIT4_EEPKT2_PKS1_PKS3_SB_lPS3_PiS9_iPS1_21rocsparse_index_base_20rocsparse_fill_mode_20rocsparse_diag_type_b,"axG",@progbits,_ZN9rocsparseL12csrsv_kernelILj1024ELj32ELb0ElldEEvT3_NS_24const_host_device_scalarIT4_EEPKT2_PKS1_PKS3_SB_lPS3_PiS9_iPS1_21rocsparse_index_base_20rocsparse_fill_mode_20rocsparse_diag_type_b,comdat
.Lfunc_end28:
	.size	_ZN9rocsparseL12csrsv_kernelILj1024ELj32ELb0ElldEEvT3_NS_24const_host_device_scalarIT4_EEPKT2_PKS1_PKS3_SB_lPS3_PiS9_iPS1_21rocsparse_index_base_20rocsparse_fill_mode_20rocsparse_diag_type_b, .Lfunc_end28-_ZN9rocsparseL12csrsv_kernelILj1024ELj32ELb0ElldEEvT3_NS_24const_host_device_scalarIT4_EEPKT2_PKS1_PKS3_SB_lPS3_PiS9_iPS1_21rocsparse_index_base_20rocsparse_fill_mode_20rocsparse_diag_type_b
                                        ; -- End function
	.set _ZN9rocsparseL12csrsv_kernelILj1024ELj32ELb0ElldEEvT3_NS_24const_host_device_scalarIT4_EEPKT2_PKS1_PKS3_SB_lPS3_PiS9_iPS1_21rocsparse_index_base_20rocsparse_fill_mode_20rocsparse_diag_type_b.num_vgpr, 18
	.set _ZN9rocsparseL12csrsv_kernelILj1024ELj32ELb0ElldEEvT3_NS_24const_host_device_scalarIT4_EEPKT2_PKS1_PKS3_SB_lPS3_PiS9_iPS1_21rocsparse_index_base_20rocsparse_fill_mode_20rocsparse_diag_type_b.num_agpr, 0
	.set _ZN9rocsparseL12csrsv_kernelILj1024ELj32ELb0ElldEEvT3_NS_24const_host_device_scalarIT4_EEPKT2_PKS1_PKS3_SB_lPS3_PiS9_iPS1_21rocsparse_index_base_20rocsparse_fill_mode_20rocsparse_diag_type_b.numbered_sgpr, 31
	.set _ZN9rocsparseL12csrsv_kernelILj1024ELj32ELb0ElldEEvT3_NS_24const_host_device_scalarIT4_EEPKT2_PKS1_PKS3_SB_lPS3_PiS9_iPS1_21rocsparse_index_base_20rocsparse_fill_mode_20rocsparse_diag_type_b.num_named_barrier, 0
	.set _ZN9rocsparseL12csrsv_kernelILj1024ELj32ELb0ElldEEvT3_NS_24const_host_device_scalarIT4_EEPKT2_PKS1_PKS3_SB_lPS3_PiS9_iPS1_21rocsparse_index_base_20rocsparse_fill_mode_20rocsparse_diag_type_b.private_seg_size, 0
	.set _ZN9rocsparseL12csrsv_kernelILj1024ELj32ELb0ElldEEvT3_NS_24const_host_device_scalarIT4_EEPKT2_PKS1_PKS3_SB_lPS3_PiS9_iPS1_21rocsparse_index_base_20rocsparse_fill_mode_20rocsparse_diag_type_b.uses_vcc, 1
	.set _ZN9rocsparseL12csrsv_kernelILj1024ELj32ELb0ElldEEvT3_NS_24const_host_device_scalarIT4_EEPKT2_PKS1_PKS3_SB_lPS3_PiS9_iPS1_21rocsparse_index_base_20rocsparse_fill_mode_20rocsparse_diag_type_b.uses_flat_scratch, 0
	.set _ZN9rocsparseL12csrsv_kernelILj1024ELj32ELb0ElldEEvT3_NS_24const_host_device_scalarIT4_EEPKT2_PKS1_PKS3_SB_lPS3_PiS9_iPS1_21rocsparse_index_base_20rocsparse_fill_mode_20rocsparse_diag_type_b.has_dyn_sized_stack, 0
	.set _ZN9rocsparseL12csrsv_kernelILj1024ELj32ELb0ElldEEvT3_NS_24const_host_device_scalarIT4_EEPKT2_PKS1_PKS3_SB_lPS3_PiS9_iPS1_21rocsparse_index_base_20rocsparse_fill_mode_20rocsparse_diag_type_b.has_recursion, 0
	.set _ZN9rocsparseL12csrsv_kernelILj1024ELj32ELb0ElldEEvT3_NS_24const_host_device_scalarIT4_EEPKT2_PKS1_PKS3_SB_lPS3_PiS9_iPS1_21rocsparse_index_base_20rocsparse_fill_mode_20rocsparse_diag_type_b.has_indirect_call, 0
	.section	.AMDGPU.csdata,"",@progbits
; Kernel info:
; codeLenInByte = 1592
; TotalNumSgprs: 33
; NumVgprs: 18
; ScratchSize: 0
; MemoryBound: 0
; FloatMode: 240
; IeeeMode: 1
; LDSByteSize: 256 bytes/workgroup (compile time only)
; SGPRBlocks: 0
; VGPRBlocks: 2
; NumSGPRsForWavesPerEU: 33
; NumVGPRsForWavesPerEU: 18
; Occupancy: 16
; WaveLimiterHint : 1
; COMPUTE_PGM_RSRC2:SCRATCH_EN: 0
; COMPUTE_PGM_RSRC2:USER_SGPR: 6
; COMPUTE_PGM_RSRC2:TRAP_HANDLER: 0
; COMPUTE_PGM_RSRC2:TGID_X_EN: 1
; COMPUTE_PGM_RSRC2:TGID_Y_EN: 0
; COMPUTE_PGM_RSRC2:TGID_Z_EN: 0
; COMPUTE_PGM_RSRC2:TIDIG_COMP_CNT: 0
	.section	.text._ZN9rocsparseL12csrsv_kernelILj1024ELj64ELb0ElldEEvT3_NS_24const_host_device_scalarIT4_EEPKT2_PKS1_PKS3_SB_lPS3_PiS9_iPS1_21rocsparse_index_base_20rocsparse_fill_mode_20rocsparse_diag_type_b,"axG",@progbits,_ZN9rocsparseL12csrsv_kernelILj1024ELj64ELb0ElldEEvT3_NS_24const_host_device_scalarIT4_EEPKT2_PKS1_PKS3_SB_lPS3_PiS9_iPS1_21rocsparse_index_base_20rocsparse_fill_mode_20rocsparse_diag_type_b,comdat
	.globl	_ZN9rocsparseL12csrsv_kernelILj1024ELj64ELb0ElldEEvT3_NS_24const_host_device_scalarIT4_EEPKT2_PKS1_PKS3_SB_lPS3_PiS9_iPS1_21rocsparse_index_base_20rocsparse_fill_mode_20rocsparse_diag_type_b ; -- Begin function _ZN9rocsparseL12csrsv_kernelILj1024ELj64ELb0ElldEEvT3_NS_24const_host_device_scalarIT4_EEPKT2_PKS1_PKS3_SB_lPS3_PiS9_iPS1_21rocsparse_index_base_20rocsparse_fill_mode_20rocsparse_diag_type_b
	.p2align	8
	.type	_ZN9rocsparseL12csrsv_kernelILj1024ELj64ELb0ElldEEvT3_NS_24const_host_device_scalarIT4_EEPKT2_PKS1_PKS3_SB_lPS3_PiS9_iPS1_21rocsparse_index_base_20rocsparse_fill_mode_20rocsparse_diag_type_b,@function
_ZN9rocsparseL12csrsv_kernelILj1024ELj64ELb0ElldEEvT3_NS_24const_host_device_scalarIT4_EEPKT2_PKS1_PKS3_SB_lPS3_PiS9_iPS1_21rocsparse_index_base_20rocsparse_fill_mode_20rocsparse_diag_type_b: ; @_ZN9rocsparseL12csrsv_kernelILj1024ELj64ELb0ElldEEvT3_NS_24const_host_device_scalarIT4_EEPKT2_PKS1_PKS3_SB_lPS3_PiS9_iPS1_21rocsparse_index_base_20rocsparse_fill_mode_20rocsparse_diag_type_b
; %bb.0:
	s_clause 0x1
	s_load_dwordx4 s[8:11], s[4:5], 0x60
	s_load_dwordx4 s[0:3], s[4:5], 0x0
	s_waitcnt lgkmcnt(0)
	s_bitcmp1_b32 s11, 0
	v_mov_b32_e32 v2, s2
	v_mov_b32_e32 v3, s3
	s_cselect_b32 s7, -1, 0
	s_and_b32 vcc_lo, exec_lo, s7
	s_cbranch_vccnz .LBB29_2
; %bb.1:
	v_mov_b32_e32 v1, s2
	v_mov_b32_e32 v2, s3
	flat_load_dwordx2 v[2:3], v[1:2]
.LBB29_2:
	v_readfirstlane_b32 s2, v0
	s_lshl_b32 s3, s6, 4
	s_lshr_b32 s11, s2, 6
	s_add_i32 s2, s11, s3
	s_mov_b32 s3, 0
	v_cmp_le_i64_e64 s0, s[0:1], s[2:3]
	s_and_b32 vcc_lo, exec_lo, s0
	s_cbranch_vccnz .LBB29_47
; %bb.3:
	s_clause 0x1
	s_load_dword s0, s[4:5], 0x50
	s_load_dwordx2 s[6:7], s[4:5], 0x48
	s_lshl_b64 s[2:3], s[2:3], 3
	v_and_b32_e32 v10, 63, v0
	v_mov_b32_e32 v0, 0
	v_mov_b32_e32 v1, 0
	s_waitcnt lgkmcnt(0)
	s_ashr_i32 s1, s0, 31
	s_add_u32 s2, s6, s2
	s_addc_u32 s3, s7, s3
	s_lshl_b64 s[0:1], s[0:1], 3
	s_mov_b32 s6, exec_lo
	s_add_u32 s0, s2, s0
	s_addc_u32 s1, s3, s1
	s_load_dwordx2 s[16:17], s[0:1], 0x0
	s_load_dwordx2 s[0:1], s[4:5], 0x10
	s_waitcnt lgkmcnt(0)
	s_lshl_b64 s[18:19], s[16:17], 3
	s_add_u32 s0, s0, s18
	s_addc_u32 s1, s1, s19
	s_load_dwordx4 s[12:15], s[4:5], 0x38
	s_load_dwordx4 s[0:3], s[0:1], 0x0
	v_cmpx_eq_u32_e32 0, v10
	s_cbranch_execz .LBB29_5
; %bb.4:
	s_load_dwordx4 s[20:23], s[4:5], 0x28
	s_waitcnt lgkmcnt(0)
	s_mul_i32 s7, s16, s23
	s_mul_hi_u32 s23, s16, s22
	s_mul_i32 s24, s17, s22
	s_add_i32 s7, s23, s7
	s_mul_i32 s22, s16, s22
	s_add_i32 s23, s7, s24
	s_lshl_b64 s[22:23], s[22:23], 3
	s_add_u32 s20, s20, s22
	s_addc_u32 s21, s21, s23
	s_load_dwordx2 s[20:21], s[20:21], 0x0
	s_waitcnt vmcnt(0) lgkmcnt(0)
	v_mul_f64 v[0:1], v[2:3], s[20:21]
.LBB29_5:
	s_or_b32 exec_lo, exec_lo, s6
	s_waitcnt vmcnt(0)
	v_sub_co_u32 v2, s6, v10, s8
	v_sub_co_ci_u32_e64 v3, null, 0, 0, s6
	v_mov_b32_e32 v11, 0
	s_waitcnt lgkmcnt(0)
	v_add_co_u32 v2, vcc_lo, s0, v2
	v_add_co_ci_u32_e64 v3, null, s1, v3, vcc_lo
	s_sub_u32 s2, s2, s8
	s_subb_u32 s3, s3, 0
	s_mov_b32 s25, 0
	s_mov_b32 s24, exec_lo
	v_cmpx_gt_i64_e64 s[2:3], v[2:3]
	s_cbranch_execz .LBB29_43
; %bb.6:
	s_clause 0x1
	s_load_dwordx2 s[20:21], s[4:5], 0x58
	s_load_dwordx4 s[4:7], s[4:5], 0x18
	s_cmp_eq_u32 s10, 0
	s_cselect_b32 s26, -1, 0
	s_add_u32 s22, s16, s8
	s_addc_u32 s23, s17, 0
	s_lshl_b32 s27, s11, 3
	s_branch .LBB29_8
.LBB29_7:                               ;   in Loop: Header=BB29_8 Depth=1
	s_or_b32 exec_lo, exec_lo, s1
	s_and_b32 s0, exec_lo, s0
	s_or_b32 s25, s0, s25
	s_andn2_b32 exec_lo, exec_lo, s25
	s_cbranch_execz .LBB29_42
.LBB29_8:                               ; =>This Loop Header: Depth=1
                                        ;     Child Loop BB29_32 Depth 2
	v_lshlrev_b64 v[6:7], 3, v[2:3]
	s_waitcnt lgkmcnt(0)
	v_add_co_u32 v4, vcc_lo, s6, v6
	v_add_co_ci_u32_e64 v5, null, s7, v7, vcc_lo
	v_add_co_u32 v6, vcc_lo, s4, v6
	v_add_co_ci_u32_e64 v7, null, s5, v7, vcc_lo
	global_load_dwordx2 v[4:5], v[4:5], off slc
	global_load_dwordx2 v[6:7], v[6:7], off slc
	s_waitcnt vmcnt(1)
	v_cmp_eq_f64_e64 s1, 0, v[4:5]
	s_waitcnt vmcnt(0)
	v_sub_co_u32 v6, vcc_lo, v6, s8
	v_subrev_co_ci_u32_e64 v7, null, 0, v7, vcc_lo
	v_cmp_eq_u64_e32 vcc_lo, s[16:17], v[6:7]
	v_cmp_ne_u64_e64 s0, s[16:17], v[6:7]
	s_and_b32 s28, s26, vcc_lo
	s_and_b32 s1, s1, s28
	s_and_saveexec_b32 s28, s1
	s_cbranch_execz .LBB29_12
; %bb.9:                                ;   in Loop: Header=BB29_8 Depth=1
	v_mbcnt_lo_u32_b32 v4, exec_lo, 0
	s_mov_b32 s29, exec_lo
	v_cmpx_eq_u32_e32 0, v4
	s_cbranch_execz .LBB29_11
; %bb.10:                               ;   in Loop: Header=BB29_8 Depth=1
	v_mov_b32_e32 v4, s22
	v_mov_b32_e32 v5, s23
	global_atomic_umin_x2 v11, v[4:5], s[20:21]
.LBB29_11:                              ;   in Loop: Header=BB29_8 Depth=1
	s_or_b32 exec_lo, exec_lo, s29
	v_mov_b32_e32 v4, 0
	v_mov_b32_e32 v5, 0x3ff00000
.LBB29_12:                              ;   in Loop: Header=BB29_8 Depth=1
	s_or_b32 exec_lo, exec_lo, s28
	s_mov_b32 s1, -1
	s_mov_b32 s28, 0
	s_cmp_lt_i32 s9, 1
	s_mov_b32 s29, 0
	s_cbranch_scc1 .LBB29_22
; %bb.13:                               ;   in Loop: Header=BB29_8 Depth=1
	s_cmp_eq_u32 s9, 1
	s_mov_b32 s29, -1
	s_cbranch_scc0 .LBB29_21
; %bb.14:                               ;   in Loop: Header=BB29_8 Depth=1
	s_mov_b32 s29, 0
	s_mov_b32 s30, exec_lo
	v_cmpx_le_i64_e64 s[16:17], v[6:7]
	s_cbranch_execz .LBB29_20
; %bb.15:                               ;   in Loop: Header=BB29_8 Depth=1
	s_mov_b32 s29, -1
	s_and_saveexec_b32 s1, vcc_lo
	s_xor_b32 s1, exec_lo, s1
	s_cbranch_execz .LBB29_19
; %bb.16:                               ;   in Loop: Header=BB29_8 Depth=1
	s_andn2_b32 vcc_lo, exec_lo, s26
	s_cbranch_vccnz .LBB29_18
; %bb.17:                               ;   in Loop: Header=BB29_8 Depth=1
	v_div_scale_f64 v[8:9], null, v[4:5], v[4:5], 1.0
	v_rcp_f64_e32 v[12:13], v[8:9]
	v_fma_f64 v[14:15], -v[8:9], v[12:13], 1.0
	v_fma_f64 v[12:13], v[12:13], v[14:15], v[12:13]
	v_fma_f64 v[14:15], -v[8:9], v[12:13], 1.0
	v_fma_f64 v[12:13], v[12:13], v[14:15], v[12:13]
	v_div_scale_f64 v[14:15], vcc_lo, 1.0, v[4:5], 1.0
	v_mul_f64 v[16:17], v[14:15], v[12:13]
	v_fma_f64 v[8:9], -v[8:9], v[16:17], v[14:15]
	v_div_fmas_f64 v[8:9], v[8:9], v[12:13], v[16:17]
	v_mov_b32_e32 v12, s27
	v_div_fixup_f64 v[8:9], v[8:9], v[4:5], 1.0
	ds_write_b64 v12, v[8:9]
.LBB29_18:                              ;   in Loop: Header=BB29_8 Depth=1
	s_xor_b32 s29, exec_lo, -1
.LBB29_19:                              ;   in Loop: Header=BB29_8 Depth=1
	s_or_b32 exec_lo, exec_lo, s1
	s_and_b32 s29, s29, exec_lo
.LBB29_20:                              ;   in Loop: Header=BB29_8 Depth=1
	s_or_b32 exec_lo, exec_lo, s30
.LBB29_21:                              ;   in Loop: Header=BB29_8 Depth=1
	s_mov_b32 s1, 0
.LBB29_22:                              ;   in Loop: Header=BB29_8 Depth=1
	s_and_b32 vcc_lo, exec_lo, s1
	s_mov_b32 s1, 4
	s_cbranch_vccz .LBB29_29
; %bb.23:                               ;   in Loop: Header=BB29_8 Depth=1
	s_cmp_eq_u32 s9, 0
	s_cbranch_scc1 .LBB29_25
; %bb.24:                               ;   in Loop: Header=BB29_8 Depth=1
	s_mov_b32 s29, -1
	s_branch .LBB29_28
.LBB29_25:                              ;   in Loop: Header=BB29_8 Depth=1
	s_mov_b32 s29, 0
	s_mov_b32 s1, exec_lo
	v_cmpx_ge_i64_e64 s[16:17], v[6:7]
; %bb.26:                               ;   in Loop: Header=BB29_8 Depth=1
	s_mov_b32 s28, exec_lo
	s_and_b32 s29, s0, exec_lo
; %bb.27:                               ;   in Loop: Header=BB29_8 Depth=1
	s_or_b32 exec_lo, exec_lo, s1
.LBB29_28:                              ;   in Loop: Header=BB29_8 Depth=1
	s_mov_b32 s1, 2
.LBB29_29:                              ;   in Loop: Header=BB29_8 Depth=1
	v_mov_b32_e32 v9, v1
	v_mov_b32_e32 v12, s1
	;; [unrolled: 1-line block ×3, first 2 shown]
	s_and_saveexec_b32 s0, s29
	s_cbranch_execz .LBB29_34
; %bb.30:                               ;   in Loop: Header=BB29_8 Depth=1
	v_lshlrev_b64 v[8:9], 2, v[6:7]
	s_mov_b32 s1, exec_lo
	v_add_co_u32 v8, vcc_lo, s14, v8
	v_add_co_ci_u32_e64 v9, null, s15, v9, vcc_lo
	global_load_dword v12, v[8:9], off glc dlc
	s_waitcnt vmcnt(0)
	v_cmpx_eq_u32_e32 0, v12
	s_cbranch_execz .LBB29_33
; %bb.31:                               ;   in Loop: Header=BB29_8 Depth=1
	s_mov_b32 s29, 0
.LBB29_32:                              ;   Parent Loop BB29_8 Depth=1
                                        ; =>  This Inner Loop Header: Depth=2
	global_load_dword v12, v[8:9], off glc dlc
	s_waitcnt vmcnt(0)
	v_cmp_ne_u32_e32 vcc_lo, 0, v12
	s_or_b32 s29, vcc_lo, s29
	s_andn2_b32 exec_lo, exec_lo, s29
	s_cbranch_execnz .LBB29_32
.LBB29_33:                              ;   in Loop: Header=BB29_8 Depth=1
	s_or_b32 exec_lo, exec_lo, s1
	v_lshlrev_b64 v[6:7], 3, v[6:7]
	s_waitcnt lgkmcnt(0)
	s_waitcnt_vscnt null, 0x0
	buffer_gl1_inv
	buffer_gl0_inv
	v_mov_b32_e32 v12, 0
	s_andn2_b32 s28, s28, exec_lo
	v_add_co_u32 v6, vcc_lo, s12, v6
	v_add_co_ci_u32_e64 v7, null, s13, v7, vcc_lo
	global_load_dwordx2 v[6:7], v[6:7], off
	s_waitcnt vmcnt(0)
	v_fma_f64 v[8:9], -v[4:5], v[6:7], v[0:1]
.LBB29_34:                              ;   in Loop: Header=BB29_8 Depth=1
	s_or_b32 exec_lo, exec_lo, s0
	s_and_saveexec_b32 s0, s28
	s_cbranch_execz .LBB29_38
; %bb.35:                               ;   in Loop: Header=BB29_8 Depth=1
	s_andn2_b32 vcc_lo, exec_lo, s26
	s_cbranch_vccnz .LBB29_37
; %bb.36:                               ;   in Loop: Header=BB29_8 Depth=1
	v_div_scale_f64 v[6:7], null, v[4:5], v[4:5], 1.0
	v_rcp_f64_e32 v[8:9], v[6:7]
	v_fma_f64 v[12:13], -v[6:7], v[8:9], 1.0
	v_fma_f64 v[8:9], v[8:9], v[12:13], v[8:9]
	v_fma_f64 v[12:13], -v[6:7], v[8:9], 1.0
	v_fma_f64 v[8:9], v[8:9], v[12:13], v[8:9]
	v_div_scale_f64 v[12:13], vcc_lo, 1.0, v[4:5], 1.0
	v_mul_f64 v[14:15], v[12:13], v[8:9]
	v_fma_f64 v[6:7], -v[6:7], v[14:15], v[12:13]
	v_div_fmas_f64 v[6:7], v[6:7], v[8:9], v[14:15]
	v_div_fixup_f64 v[4:5], v[6:7], v[4:5], 1.0
	v_mov_b32_e32 v6, s27
	ds_write_b64 v6, v[4:5]
.LBB29_37:                              ;   in Loop: Header=BB29_8 Depth=1
	v_mov_b32_e32 v9, v1
	v_mov_b32_e32 v12, 2
	;; [unrolled: 1-line block ×3, first 2 shown]
.LBB29_38:                              ;   in Loop: Header=BB29_8 Depth=1
	s_or_b32 exec_lo, exec_lo, s0
	v_mov_b32_e32 v0, v8
	v_mov_b32_e32 v1, v9
	s_mov_b32 s0, -1
	s_mov_b32 s28, -1
	s_mov_b32 s1, exec_lo
	v_cmpx_gt_i32_e32 4, v12
; %bb.39:                               ;   in Loop: Header=BB29_8 Depth=1
	v_cmp_eq_u32_e32 vcc_lo, 0, v12
	s_orn2_b32 s28, vcc_lo, exec_lo
; %bb.40:                               ;   in Loop: Header=BB29_8 Depth=1
	s_or_b32 exec_lo, exec_lo, s1
	s_and_saveexec_b32 s1, s28
	s_cbranch_execz .LBB29_7
; %bb.41:                               ;   in Loop: Header=BB29_8 Depth=1
	v_add_co_u32 v2, vcc_lo, v2, 64
	v_add_co_ci_u32_e64 v3, null, 0, v3, vcc_lo
	v_cmp_le_i64_e32 vcc_lo, s[2:3], v[2:3]
	s_orn2_b32 s0, vcc_lo, exec_lo
	s_branch .LBB29_7
.LBB29_42:
	s_or_b32 exec_lo, exec_lo, s25
.LBB29_43:
	s_or_b32 exec_lo, exec_lo, s24
	v_mbcnt_lo_u32_b32 v4, -1, 0
	s_cmp_lg_u32 s10, 0
	v_or_b32_e32 v2, 32, v4
	v_cmp_gt_i32_e32 vcc_lo, 32, v2
	v_cndmask_b32_e32 v2, v4, v2, vcc_lo
	v_lshlrev_b32_e32 v3, 2, v2
	ds_bpermute_b32 v2, v3, v0
	ds_bpermute_b32 v3, v3, v1
	s_waitcnt lgkmcnt(0)
	v_add_f64 v[0:1], v[0:1], v[2:3]
	v_xor_b32_e32 v2, 16, v4
	v_cmp_gt_i32_e32 vcc_lo, 32, v2
	v_cndmask_b32_e32 v2, v4, v2, vcc_lo
	v_lshlrev_b32_e32 v3, 2, v2
	ds_bpermute_b32 v2, v3, v0
	ds_bpermute_b32 v3, v3, v1
	s_waitcnt lgkmcnt(0)
	v_add_f64 v[0:1], v[0:1], v[2:3]
	v_xor_b32_e32 v2, 8, v4
	;; [unrolled: 8-line block ×5, first 2 shown]
	v_cmp_gt_i32_e32 vcc_lo, 32, v2
	v_cndmask_b32_e32 v2, v4, v2, vcc_lo
	v_lshlrev_b32_e32 v3, 2, v2
	ds_bpermute_b32 v2, v3, v0
	ds_bpermute_b32 v3, v3, v1
	s_waitcnt lgkmcnt(0)
	v_add_f64 v[0:1], v[0:1], v[2:3]
	s_cbranch_scc1 .LBB29_45
; %bb.44:
	s_lshl_b32 s0, s11, 3
	s_waitcnt_vscnt null, 0x0
	buffer_gl0_inv
	v_mov_b32_e32 v2, s0
	ds_read_b64 v[2:3], v2
	s_waitcnt lgkmcnt(0)
	v_mul_f64 v[0:1], v[0:1], v[2:3]
.LBB29_45:
	s_mov_b32 s0, exec_lo
	v_cmpx_eq_u32_e32 63, v10
	s_cbranch_execz .LBB29_47
; %bb.46:
	s_add_u32 s0, s12, s18
	v_mov_b32_e32 v2, 0
	s_addc_u32 s1, s13, s19
	s_lshl_b64 s[2:3], s[16:17], 2
	v_mov_b32_e32 v3, 1
	s_add_u32 s2, s14, s2
	s_addc_u32 s3, s15, s3
	global_store_dwordx2 v2, v[0:1], s[0:1] glc slc
	s_waitcnt_vscnt null, 0x0
	global_store_dword v2, v3, s[2:3]
.LBB29_47:
	s_endpgm
	.section	.rodata,"a",@progbits
	.p2align	6, 0x0
	.amdhsa_kernel _ZN9rocsparseL12csrsv_kernelILj1024ELj64ELb0ElldEEvT3_NS_24const_host_device_scalarIT4_EEPKT2_PKS1_PKS3_SB_lPS3_PiS9_iPS1_21rocsparse_index_base_20rocsparse_fill_mode_20rocsparse_diag_type_b
		.amdhsa_group_segment_fixed_size 128
		.amdhsa_private_segment_fixed_size 0
		.amdhsa_kernarg_size 112
		.amdhsa_user_sgpr_count 6
		.amdhsa_user_sgpr_private_segment_buffer 1
		.amdhsa_user_sgpr_dispatch_ptr 0
		.amdhsa_user_sgpr_queue_ptr 0
		.amdhsa_user_sgpr_kernarg_segment_ptr 1
		.amdhsa_user_sgpr_dispatch_id 0
		.amdhsa_user_sgpr_flat_scratch_init 0
		.amdhsa_user_sgpr_private_segment_size 0
		.amdhsa_wavefront_size32 1
		.amdhsa_uses_dynamic_stack 0
		.amdhsa_system_sgpr_private_segment_wavefront_offset 0
		.amdhsa_system_sgpr_workgroup_id_x 1
		.amdhsa_system_sgpr_workgroup_id_y 0
		.amdhsa_system_sgpr_workgroup_id_z 0
		.amdhsa_system_sgpr_workgroup_info 0
		.amdhsa_system_vgpr_workitem_id 0
		.amdhsa_next_free_vgpr 18
		.amdhsa_next_free_sgpr 31
		.amdhsa_reserve_vcc 1
		.amdhsa_reserve_flat_scratch 0
		.amdhsa_float_round_mode_32 0
		.amdhsa_float_round_mode_16_64 0
		.amdhsa_float_denorm_mode_32 3
		.amdhsa_float_denorm_mode_16_64 3
		.amdhsa_dx10_clamp 1
		.amdhsa_ieee_mode 1
		.amdhsa_fp16_overflow 0
		.amdhsa_workgroup_processor_mode 1
		.amdhsa_memory_ordered 1
		.amdhsa_forward_progress 1
		.amdhsa_shared_vgpr_count 0
		.amdhsa_exception_fp_ieee_invalid_op 0
		.amdhsa_exception_fp_denorm_src 0
		.amdhsa_exception_fp_ieee_div_zero 0
		.amdhsa_exception_fp_ieee_overflow 0
		.amdhsa_exception_fp_ieee_underflow 0
		.amdhsa_exception_fp_ieee_inexact 0
		.amdhsa_exception_int_div_zero 0
	.end_amdhsa_kernel
	.section	.text._ZN9rocsparseL12csrsv_kernelILj1024ELj64ELb0ElldEEvT3_NS_24const_host_device_scalarIT4_EEPKT2_PKS1_PKS3_SB_lPS3_PiS9_iPS1_21rocsparse_index_base_20rocsparse_fill_mode_20rocsparse_diag_type_b,"axG",@progbits,_ZN9rocsparseL12csrsv_kernelILj1024ELj64ELb0ElldEEvT3_NS_24const_host_device_scalarIT4_EEPKT2_PKS1_PKS3_SB_lPS3_PiS9_iPS1_21rocsparse_index_base_20rocsparse_fill_mode_20rocsparse_diag_type_b,comdat
.Lfunc_end29:
	.size	_ZN9rocsparseL12csrsv_kernelILj1024ELj64ELb0ElldEEvT3_NS_24const_host_device_scalarIT4_EEPKT2_PKS1_PKS3_SB_lPS3_PiS9_iPS1_21rocsparse_index_base_20rocsparse_fill_mode_20rocsparse_diag_type_b, .Lfunc_end29-_ZN9rocsparseL12csrsv_kernelILj1024ELj64ELb0ElldEEvT3_NS_24const_host_device_scalarIT4_EEPKT2_PKS1_PKS3_SB_lPS3_PiS9_iPS1_21rocsparse_index_base_20rocsparse_fill_mode_20rocsparse_diag_type_b
                                        ; -- End function
	.set _ZN9rocsparseL12csrsv_kernelILj1024ELj64ELb0ElldEEvT3_NS_24const_host_device_scalarIT4_EEPKT2_PKS1_PKS3_SB_lPS3_PiS9_iPS1_21rocsparse_index_base_20rocsparse_fill_mode_20rocsparse_diag_type_b.num_vgpr, 18
	.set _ZN9rocsparseL12csrsv_kernelILj1024ELj64ELb0ElldEEvT3_NS_24const_host_device_scalarIT4_EEPKT2_PKS1_PKS3_SB_lPS3_PiS9_iPS1_21rocsparse_index_base_20rocsparse_fill_mode_20rocsparse_diag_type_b.num_agpr, 0
	.set _ZN9rocsparseL12csrsv_kernelILj1024ELj64ELb0ElldEEvT3_NS_24const_host_device_scalarIT4_EEPKT2_PKS1_PKS3_SB_lPS3_PiS9_iPS1_21rocsparse_index_base_20rocsparse_fill_mode_20rocsparse_diag_type_b.numbered_sgpr, 31
	.set _ZN9rocsparseL12csrsv_kernelILj1024ELj64ELb0ElldEEvT3_NS_24const_host_device_scalarIT4_EEPKT2_PKS1_PKS3_SB_lPS3_PiS9_iPS1_21rocsparse_index_base_20rocsparse_fill_mode_20rocsparse_diag_type_b.num_named_barrier, 0
	.set _ZN9rocsparseL12csrsv_kernelILj1024ELj64ELb0ElldEEvT3_NS_24const_host_device_scalarIT4_EEPKT2_PKS1_PKS3_SB_lPS3_PiS9_iPS1_21rocsparse_index_base_20rocsparse_fill_mode_20rocsparse_diag_type_b.private_seg_size, 0
	.set _ZN9rocsparseL12csrsv_kernelILj1024ELj64ELb0ElldEEvT3_NS_24const_host_device_scalarIT4_EEPKT2_PKS1_PKS3_SB_lPS3_PiS9_iPS1_21rocsparse_index_base_20rocsparse_fill_mode_20rocsparse_diag_type_b.uses_vcc, 1
	.set _ZN9rocsparseL12csrsv_kernelILj1024ELj64ELb0ElldEEvT3_NS_24const_host_device_scalarIT4_EEPKT2_PKS1_PKS3_SB_lPS3_PiS9_iPS1_21rocsparse_index_base_20rocsparse_fill_mode_20rocsparse_diag_type_b.uses_flat_scratch, 0
	.set _ZN9rocsparseL12csrsv_kernelILj1024ELj64ELb0ElldEEvT3_NS_24const_host_device_scalarIT4_EEPKT2_PKS1_PKS3_SB_lPS3_PiS9_iPS1_21rocsparse_index_base_20rocsparse_fill_mode_20rocsparse_diag_type_b.has_dyn_sized_stack, 0
	.set _ZN9rocsparseL12csrsv_kernelILj1024ELj64ELb0ElldEEvT3_NS_24const_host_device_scalarIT4_EEPKT2_PKS1_PKS3_SB_lPS3_PiS9_iPS1_21rocsparse_index_base_20rocsparse_fill_mode_20rocsparse_diag_type_b.has_recursion, 0
	.set _ZN9rocsparseL12csrsv_kernelILj1024ELj64ELb0ElldEEvT3_NS_24const_host_device_scalarIT4_EEPKT2_PKS1_PKS3_SB_lPS3_PiS9_iPS1_21rocsparse_index_base_20rocsparse_fill_mode_20rocsparse_diag_type_b.has_indirect_call, 0
	.section	.AMDGPU.csdata,"",@progbits
; Kernel info:
; codeLenInByte = 1636
; TotalNumSgprs: 33
; NumVgprs: 18
; ScratchSize: 0
; MemoryBound: 0
; FloatMode: 240
; IeeeMode: 1
; LDSByteSize: 128 bytes/workgroup (compile time only)
; SGPRBlocks: 0
; VGPRBlocks: 2
; NumSGPRsForWavesPerEU: 33
; NumVGPRsForWavesPerEU: 18
; Occupancy: 16
; WaveLimiterHint : 1
; COMPUTE_PGM_RSRC2:SCRATCH_EN: 0
; COMPUTE_PGM_RSRC2:USER_SGPR: 6
; COMPUTE_PGM_RSRC2:TRAP_HANDLER: 0
; COMPUTE_PGM_RSRC2:TGID_X_EN: 1
; COMPUTE_PGM_RSRC2:TGID_Y_EN: 0
; COMPUTE_PGM_RSRC2:TGID_Z_EN: 0
; COMPUTE_PGM_RSRC2:TIDIG_COMP_CNT: 0
	.section	.text._ZN9rocsparseL12csrsv_kernelILj1024ELj64ELb1Ell21rocsparse_complex_numIfEEEvT3_NS_24const_host_device_scalarIT4_EEPKT2_PKS3_PKS5_SD_lPS5_PiSB_iPS3_21rocsparse_index_base_20rocsparse_fill_mode_20rocsparse_diag_type_b,"axG",@progbits,_ZN9rocsparseL12csrsv_kernelILj1024ELj64ELb1Ell21rocsparse_complex_numIfEEEvT3_NS_24const_host_device_scalarIT4_EEPKT2_PKS3_PKS5_SD_lPS5_PiSB_iPS3_21rocsparse_index_base_20rocsparse_fill_mode_20rocsparse_diag_type_b,comdat
	.globl	_ZN9rocsparseL12csrsv_kernelILj1024ELj64ELb1Ell21rocsparse_complex_numIfEEEvT3_NS_24const_host_device_scalarIT4_EEPKT2_PKS3_PKS5_SD_lPS5_PiSB_iPS3_21rocsparse_index_base_20rocsparse_fill_mode_20rocsparse_diag_type_b ; -- Begin function _ZN9rocsparseL12csrsv_kernelILj1024ELj64ELb1Ell21rocsparse_complex_numIfEEEvT3_NS_24const_host_device_scalarIT4_EEPKT2_PKS3_PKS5_SD_lPS5_PiSB_iPS3_21rocsparse_index_base_20rocsparse_fill_mode_20rocsparse_diag_type_b
	.p2align	8
	.type	_ZN9rocsparseL12csrsv_kernelILj1024ELj64ELb1Ell21rocsparse_complex_numIfEEEvT3_NS_24const_host_device_scalarIT4_EEPKT2_PKS3_PKS5_SD_lPS5_PiSB_iPS3_21rocsparse_index_base_20rocsparse_fill_mode_20rocsparse_diag_type_b,@function
_ZN9rocsparseL12csrsv_kernelILj1024ELj64ELb1Ell21rocsparse_complex_numIfEEEvT3_NS_24const_host_device_scalarIT4_EEPKT2_PKS3_PKS5_SD_lPS5_PiSB_iPS3_21rocsparse_index_base_20rocsparse_fill_mode_20rocsparse_diag_type_b: ; @_ZN9rocsparseL12csrsv_kernelILj1024ELj64ELb1Ell21rocsparse_complex_numIfEEEvT3_NS_24const_host_device_scalarIT4_EEPKT2_PKS3_PKS5_SD_lPS5_PiSB_iPS3_21rocsparse_index_base_20rocsparse_fill_mode_20rocsparse_diag_type_b
; %bb.0:
	s_clause 0x1
	s_load_dwordx4 s[8:11], s[4:5], 0x60
	s_load_dwordx4 s[0:3], s[4:5], 0x0
	s_waitcnt lgkmcnt(0)
	s_bitcmp1_b32 s11, 0
	s_mov_b32 s24, s2
	s_cselect_b32 s11, -1, 0
	s_xor_b32 s7, s11, -1
	s_and_b32 vcc_lo, exec_lo, s11
	s_cbranch_vccnz .LBB30_2
; %bb.1:
	s_load_dword s24, s[2:3], 0x0
.LBB30_2:
	s_andn2_b32 vcc_lo, exec_lo, s7
	s_cbranch_vccnz .LBB30_4
; %bb.3:
	s_load_dword s3, s[2:3], 0x4
.LBB30_4:
	v_readfirstlane_b32 s2, v0
	s_lshl_b32 s6, s6, 4
	s_mov_b32 s7, 0
	s_lshr_b32 s11, s2, 6
	s_add_i32 s6, s11, s6
	v_cmp_le_i64_e64 s0, s[0:1], s[6:7]
	s_and_b32 vcc_lo, exec_lo, s0
	s_cbranch_vccnz .LBB30_51
; %bb.5:
	s_clause 0x1
	s_load_dword s0, s[4:5], 0x50
	s_load_dwordx2 s[12:13], s[4:5], 0x48
	s_lshl_b64 s[6:7], s[6:7], 3
	v_and_b32_e32 v8, 63, v0
	v_mov_b32_e32 v9, 0
	v_mov_b32_e32 v10, 0
	s_waitcnt lgkmcnt(0)
	s_ashr_i32 s1, s0, 31
	s_add_u32 s2, s12, s6
	s_addc_u32 s6, s13, s7
	s_lshl_b64 s[0:1], s[0:1], 3
	s_add_u32 s0, s2, s0
	s_addc_u32 s1, s6, s1
	s_load_dwordx2 s[20:21], s[0:1], 0x0
	s_load_dwordx2 s[0:1], s[4:5], 0x10
	s_waitcnt lgkmcnt(0)
	s_lshl_b64 s[22:23], s[20:21], 3
	s_add_u32 s0, s0, s22
	s_addc_u32 s1, s1, s23
	s_load_dwordx4 s[12:15], s[4:5], 0x38
	s_load_dwordx4 s[16:19], s[0:1], 0x0
	s_mov_b32 s0, exec_lo
	v_cmpx_eq_u32_e32 0, v8
	s_cbranch_execz .LBB30_7
; %bb.6:
	s_load_dwordx4 s[28:31], s[4:5], 0x28
	s_waitcnt lgkmcnt(0)
	s_mul_i32 s1, s20, s31
	s_mul_hi_u32 s2, s20, s30
	s_mul_i32 s7, s21, s30
	s_add_i32 s1, s2, s1
	s_mul_i32 s6, s20, s30
	s_add_i32 s7, s1, s7
	s_lshl_b64 s[6:7], s[6:7], 3
	s_add_u32 s6, s28, s6
	s_addc_u32 s7, s29, s7
	s_load_dwordx2 s[6:7], s[6:7], 0x0
	s_waitcnt lgkmcnt(0)
	v_mul_f32_e64 v9, s7, -s3
	v_mul_f32_e64 v10, s7, s24
	v_fmac_f32_e64 v9, s24, s6
	v_fmac_f32_e64 v10, s3, s6
.LBB30_7:
	s_or_b32 exec_lo, exec_lo, s0
	v_sub_co_u32 v0, s0, v8, s8
	v_sub_co_ci_u32_e64 v1, null, 0, 0, s0
	s_waitcnt lgkmcnt(0)
	s_sub_u32 s2, s18, s8
	v_add_co_u32 v0, vcc_lo, s16, v0
	v_add_co_ci_u32_e64 v1, null, s17, v1, vcc_lo
	s_subb_u32 s3, s19, 0
	s_mov_b32 s25, 0
	s_mov_b32 s24, exec_lo
	v_cmpx_gt_i64_e64 s[2:3], v[0:1]
	s_cbranch_execz .LBB30_47
; %bb.8:
	s_clause 0x1
	s_load_dwordx2 s[16:17], s[4:5], 0x58
	s_load_dwordx4 s[4:7], s[4:5], 0x18
	s_cmp_eq_u32 s10, 0
	v_mov_b32_e32 v11, 0
	s_cselect_b32 s26, -1, 0
	s_add_u32 s18, s20, s8
	s_addc_u32 s19, s21, 0
	s_lshl_b32 s27, s11, 3
	s_branch .LBB30_10
.LBB30_9:                               ;   in Loop: Header=BB30_10 Depth=1
	s_or_b32 exec_lo, exec_lo, s1
	s_and_b32 s0, exec_lo, s0
	s_or_b32 s25, s0, s25
	s_andn2_b32 exec_lo, exec_lo, s25
	s_cbranch_execz .LBB30_46
.LBB30_10:                              ; =>This Loop Header: Depth=1
                                        ;     Child Loop BB30_35 Depth 2
                                        ;       Child Loop BB30_36 Depth 3
	v_lshlrev_b64 v[2:3], 3, v[0:1]
	s_waitcnt lgkmcnt(0)
	v_add_co_u32 v4, vcc_lo, s4, v2
	v_add_co_ci_u32_e64 v5, null, s5, v3, vcc_lo
	v_add_co_u32 v2, vcc_lo, s6, v2
	v_add_co_ci_u32_e64 v3, null, s7, v3, vcc_lo
	global_load_dwordx2 v[4:5], v[4:5], off slc
	global_load_dwordx2 v[2:3], v[2:3], off slc
	s_waitcnt vmcnt(1)
	v_sub_co_u32 v4, vcc_lo, v4, s8
	v_subrev_co_ci_u32_e64 v5, null, 0, v5, vcc_lo
	s_waitcnt vmcnt(0)
	v_cmp_eq_f32_e64 s0, 0, v2
	v_cmp_eq_f32_e64 s1, 0, v3
	v_cmp_eq_u64_e32 vcc_lo, s[20:21], v[4:5]
	s_and_b32 s1, s0, s1
	v_cmp_ne_u64_e64 s0, s[20:21], v[4:5]
	s_and_b32 s1, s1, vcc_lo
	s_and_b32 s1, s26, s1
	s_and_saveexec_b32 s28, s1
	s_cbranch_execz .LBB30_14
; %bb.11:                               ;   in Loop: Header=BB30_10 Depth=1
	v_mbcnt_lo_u32_b32 v2, exec_lo, 0
	s_mov_b32 s29, exec_lo
	v_cmpx_eq_u32_e32 0, v2
	s_cbranch_execz .LBB30_13
; %bb.12:                               ;   in Loop: Header=BB30_10 Depth=1
	v_mov_b32_e32 v2, s18
	v_mov_b32_e32 v3, s19
	global_atomic_umin_x2 v11, v[2:3], s[16:17]
.LBB30_13:                              ;   in Loop: Header=BB30_10 Depth=1
	s_or_b32 exec_lo, exec_lo, s29
	v_mov_b32_e32 v3, 0
	v_mov_b32_e32 v2, 1.0
.LBB30_14:                              ;   in Loop: Header=BB30_10 Depth=1
	s_or_b32 exec_lo, exec_lo, s28
	s_mov_b32 s1, -1
	s_mov_b32 s28, 0
	s_cmp_lt_i32 s9, 1
	s_mov_b32 s29, 0
	s_cbranch_scc1 .LBB30_24
; %bb.15:                               ;   in Loop: Header=BB30_10 Depth=1
	s_cmp_eq_u32 s9, 1
	s_mov_b32 s29, -1
	s_cbranch_scc0 .LBB30_23
; %bb.16:                               ;   in Loop: Header=BB30_10 Depth=1
	s_mov_b32 s29, 0
	s_mov_b32 s30, exec_lo
	v_cmpx_le_i64_e64 s[20:21], v[4:5]
	s_cbranch_execz .LBB30_22
; %bb.17:                               ;   in Loop: Header=BB30_10 Depth=1
	s_mov_b32 s29, -1
	s_and_saveexec_b32 s1, vcc_lo
	s_xor_b32 s1, exec_lo, s1
	s_cbranch_execz .LBB30_21
; %bb.18:                               ;   in Loop: Header=BB30_10 Depth=1
	s_andn2_b32 vcc_lo, exec_lo, s26
	s_cbranch_vccnz .LBB30_20
; %bb.19:                               ;   in Loop: Header=BB30_10 Depth=1
	v_mul_f32_e32 v6, v3, v3
	v_fmac_f32_e32 v6, v2, v2
	v_div_scale_f32 v7, null, v6, v6, 1.0
	v_div_scale_f32 v14, vcc_lo, 1.0, v6, 1.0
	v_rcp_f32_e32 v12, v7
	v_fma_f32 v13, -v7, v12, 1.0
	v_fmac_f32_e32 v12, v13, v12
	v_mul_f32_e32 v13, v14, v12
	v_fma_f32 v15, -v7, v13, v14
	v_fmac_f32_e32 v13, v15, v12
	v_fma_f32 v7, -v7, v13, v14
	v_div_fmas_f32 v7, v7, v12, v13
	v_fma_f32 v12, 0, v3, v2
	v_fma_f32 v13, v2, 0, -v3
	v_div_fixup_f32 v7, v7, v6, 1.0
	v_mul_f32_e32 v6, v12, v7
	v_mul_f32_e32 v7, v13, v7
	v_mov_b32_e32 v12, s27
	ds_write_b64 v12, v[6:7]
.LBB30_20:                              ;   in Loop: Header=BB30_10 Depth=1
	s_xor_b32 s29, exec_lo, -1
.LBB30_21:                              ;   in Loop: Header=BB30_10 Depth=1
	s_or_b32 exec_lo, exec_lo, s1
	s_and_b32 s29, s29, exec_lo
.LBB30_22:                              ;   in Loop: Header=BB30_10 Depth=1
	s_or_b32 exec_lo, exec_lo, s30
.LBB30_23:                              ;   in Loop: Header=BB30_10 Depth=1
	s_mov_b32 s1, 0
.LBB30_24:                              ;   in Loop: Header=BB30_10 Depth=1
	s_and_b32 vcc_lo, exec_lo, s1
	s_mov_b32 s1, 4
	s_cbranch_vccz .LBB30_31
; %bb.25:                               ;   in Loop: Header=BB30_10 Depth=1
	s_cmp_eq_u32 s9, 0
	s_cbranch_scc1 .LBB30_27
; %bb.26:                               ;   in Loop: Header=BB30_10 Depth=1
	s_mov_b32 s29, -1
	s_branch .LBB30_30
.LBB30_27:                              ;   in Loop: Header=BB30_10 Depth=1
	s_mov_b32 s29, 0
	s_mov_b32 s1, exec_lo
	v_cmpx_ge_i64_e64 s[20:21], v[4:5]
; %bb.28:                               ;   in Loop: Header=BB30_10 Depth=1
	s_mov_b32 s28, exec_lo
	s_and_b32 s29, s0, exec_lo
; %bb.29:                               ;   in Loop: Header=BB30_10 Depth=1
	s_or_b32 exec_lo, exec_lo, s1
.LBB30_30:                              ;   in Loop: Header=BB30_10 Depth=1
	s_mov_b32 s1, 2
.LBB30_31:                              ;   in Loop: Header=BB30_10 Depth=1
	v_mov_b32_e32 v6, s1
	v_mov_b32_e32 v12, v10
	;; [unrolled: 1-line block ×3, first 2 shown]
	s_and_saveexec_b32 s0, s29
	s_cbranch_execz .LBB30_38
; %bb.32:                               ;   in Loop: Header=BB30_10 Depth=1
	v_lshlrev_b64 v[6:7], 2, v[4:5]
	s_mov_b32 s1, exec_lo
	v_add_co_u32 v6, vcc_lo, s14, v6
	v_add_co_ci_u32_e64 v7, null, s15, v7, vcc_lo
	global_load_dword v12, v[6:7], off glc dlc
	s_waitcnt vmcnt(0)
	v_cmpx_eq_u32_e32 0, v12
	s_cbranch_execz .LBB30_37
; %bb.33:                               ;   in Loop: Header=BB30_10 Depth=1
	s_mov_b32 s29, 0
	s_mov_b32 s30, 0
	s_branch .LBB30_35
	.p2align	6
.LBB30_34:                              ;   in Loop: Header=BB30_35 Depth=2
	global_load_dword v12, v[6:7], off glc dlc
	s_cmpk_lt_u32 s30, 0xf43
	s_cselect_b32 s31, -1, 0
	s_cmp_lg_u32 s31, 0
	s_addc_u32 s30, s30, 0
	s_waitcnt vmcnt(0)
	v_cmp_ne_u32_e32 vcc_lo, 0, v12
	s_or_b32 s29, vcc_lo, s29
	s_andn2_b32 exec_lo, exec_lo, s29
	s_cbranch_execz .LBB30_37
.LBB30_35:                              ;   Parent Loop BB30_10 Depth=1
                                        ; =>  This Loop Header: Depth=2
                                        ;       Child Loop BB30_36 Depth 3
	s_cmp_eq_u32 s30, 0
	s_mov_b32 s31, s30
	s_cbranch_scc1 .LBB30_34
.LBB30_36:                              ;   Parent Loop BB30_10 Depth=1
                                        ;     Parent Loop BB30_35 Depth=2
                                        ; =>    This Inner Loop Header: Depth=3
	s_add_i32 s31, s31, -1
	s_sleep 1
	s_cmp_eq_u32 s31, 0
	s_cbranch_scc0 .LBB30_36
	s_branch .LBB30_34
.LBB30_37:                              ;   in Loop: Header=BB30_10 Depth=1
	s_or_b32 exec_lo, exec_lo, s1
	v_lshlrev_b64 v[4:5], 3, v[4:5]
	s_waitcnt lgkmcnt(0)
	s_waitcnt_vscnt null, 0x0
	buffer_gl1_inv
	buffer_gl0_inv
	v_mov_b32_e32 v6, 0
	s_andn2_b32 s28, s28, exec_lo
	v_add_co_u32 v4, vcc_lo, s12, v4
	v_add_co_ci_u32_e64 v5, null, s13, v5, vcc_lo
	global_load_dwordx2 v[4:5], v[4:5], off
	s_waitcnt vmcnt(0)
	v_fma_f32 v7, -v2, v4, v9
	v_fma_f32 v4, -v3, v4, v10
	v_fmac_f32_e32 v7, v3, v5
	v_fma_f32 v12, -v2, v5, v4
.LBB30_38:                              ;   in Loop: Header=BB30_10 Depth=1
	s_or_b32 exec_lo, exec_lo, s0
	s_and_saveexec_b32 s0, s28
	s_cbranch_execz .LBB30_42
; %bb.39:                               ;   in Loop: Header=BB30_10 Depth=1
	s_andn2_b32 vcc_lo, exec_lo, s26
	s_cbranch_vccnz .LBB30_41
; %bb.40:                               ;   in Loop: Header=BB30_10 Depth=1
	v_mul_f32_e32 v4, v3, v3
	v_fmac_f32_e32 v4, v2, v2
	v_div_scale_f32 v5, null, v4, v4, 1.0
	v_div_scale_f32 v12, vcc_lo, 1.0, v4, 1.0
	v_rcp_f32_e32 v6, v5
	v_fma_f32 v7, -v5, v6, 1.0
	v_fmac_f32_e32 v6, v7, v6
	v_mul_f32_e32 v7, v12, v6
	v_fma_f32 v13, -v5, v7, v12
	v_fmac_f32_e32 v7, v13, v6
	v_fma_f32 v5, -v5, v7, v12
	v_div_fmas_f32 v5, v5, v6, v7
	v_fma_f32 v6, 0, v3, v2
	v_fma_f32 v3, v2, 0, -v3
	v_div_fixup_f32 v4, v5, v4, 1.0
	v_mul_f32_e32 v2, v6, v4
	v_mul_f32_e32 v3, v3, v4
	v_mov_b32_e32 v4, s27
	ds_write_b64 v4, v[2:3]
.LBB30_41:                              ;   in Loop: Header=BB30_10 Depth=1
	v_mov_b32_e32 v6, 2
	v_mov_b32_e32 v7, v9
	;; [unrolled: 1-line block ×3, first 2 shown]
.LBB30_42:                              ;   in Loop: Header=BB30_10 Depth=1
	s_or_b32 exec_lo, exec_lo, s0
	v_mov_b32_e32 v10, v12
	v_mov_b32_e32 v9, v7
	s_mov_b32 s0, -1
	s_mov_b32 s28, -1
	s_mov_b32 s1, exec_lo
	v_cmpx_gt_i32_e32 4, v6
; %bb.43:                               ;   in Loop: Header=BB30_10 Depth=1
	v_cmp_eq_u32_e32 vcc_lo, 0, v6
	s_orn2_b32 s28, vcc_lo, exec_lo
; %bb.44:                               ;   in Loop: Header=BB30_10 Depth=1
	s_or_b32 exec_lo, exec_lo, s1
	s_and_saveexec_b32 s1, s28
	s_cbranch_execz .LBB30_9
; %bb.45:                               ;   in Loop: Header=BB30_10 Depth=1
	v_add_co_u32 v0, vcc_lo, v0, 64
	v_add_co_ci_u32_e64 v1, null, 0, v1, vcc_lo
	v_cmp_le_i64_e32 vcc_lo, s[2:3], v[0:1]
	s_orn2_b32 s0, vcc_lo, exec_lo
	s_branch .LBB30_9
.LBB30_46:
	s_or_b32 exec_lo, exec_lo, s25
.LBB30_47:
	s_or_b32 exec_lo, exec_lo, s24
	v_mbcnt_lo_u32_b32 v0, -1, 0
	s_cmp_lg_u32 s10, 0
	v_or_b32_e32 v1, 32, v0
	v_xor_b32_e32 v3, 16, v0
	v_xor_b32_e32 v5, 8, v0
	v_cmp_gt_i32_e32 vcc_lo, 32, v1
	v_cndmask_b32_e32 v1, v0, v1, vcc_lo
	v_cmp_gt_i32_e32 vcc_lo, 32, v3
	v_lshlrev_b32_e32 v1, 2, v1
	v_cndmask_b32_e32 v3, v0, v3, vcc_lo
	v_cmp_gt_i32_e32 vcc_lo, 32, v5
	ds_bpermute_b32 v2, v1, v9
	ds_bpermute_b32 v1, v1, v10
	v_lshlrev_b32_e32 v3, 2, v3
	v_cndmask_b32_e32 v5, v0, v5, vcc_lo
	v_lshlrev_b32_e32 v5, 2, v5
	s_waitcnt lgkmcnt(1)
	v_add_f32_e32 v2, v9, v2
	s_waitcnt lgkmcnt(0)
	v_add_f32_e32 v1, v10, v1
	ds_bpermute_b32 v4, v3, v2
	ds_bpermute_b32 v3, v3, v1
	s_waitcnt lgkmcnt(1)
	v_add_f32_e32 v2, v2, v4
	s_waitcnt lgkmcnt(0)
	v_add_f32_e32 v1, v1, v3
	ds_bpermute_b32 v3, v5, v2
	ds_bpermute_b32 v4, v5, v1
	v_xor_b32_e32 v5, 4, v0
	v_cmp_gt_i32_e32 vcc_lo, 32, v5
	v_cndmask_b32_e32 v5, v0, v5, vcc_lo
	v_lshlrev_b32_e32 v5, 2, v5
	s_waitcnt lgkmcnt(1)
	v_add_f32_e32 v2, v2, v3
	s_waitcnt lgkmcnt(0)
	v_add_f32_e32 v1, v1, v4
	ds_bpermute_b32 v3, v5, v2
	ds_bpermute_b32 v4, v5, v1
	v_xor_b32_e32 v5, 2, v0
	v_cmp_gt_i32_e32 vcc_lo, 32, v5
	v_cndmask_b32_e32 v5, v0, v5, vcc_lo
	v_lshlrev_b32_e32 v5, 2, v5
	;; [unrolled: 10-line block ×3, first 2 shown]
	s_waitcnt lgkmcnt(1)
	v_add_f32_e32 v2, v2, v3
	s_waitcnt lgkmcnt(0)
	v_add_f32_e32 v1, v1, v4
	ds_bpermute_b32 v3, v0, v2
	ds_bpermute_b32 v4, v0, v1
	s_waitcnt lgkmcnt(1)
	v_add_f32_e32 v0, v2, v3
	s_waitcnt lgkmcnt(0)
	v_add_f32_e32 v1, v1, v4
	s_cbranch_scc1 .LBB30_49
; %bb.48:
	s_lshl_b32 s0, s11, 3
	s_waitcnt_vscnt null, 0x0
	buffer_gl0_inv
	v_mov_b32_e32 v2, s0
	ds_read_b64 v[2:3], v2
	s_waitcnt lgkmcnt(0)
	v_mul_f32_e64 v4, v3, -v1
	v_mul_f32_e32 v3, v0, v3
	v_fmac_f32_e32 v4, v0, v2
	v_fmac_f32_e32 v3, v1, v2
	v_mov_b32_e32 v0, v4
	v_mov_b32_e32 v1, v3
.LBB30_49:
	s_mov_b32 s0, exec_lo
	v_cmpx_eq_u32_e32 63, v8
	s_cbranch_execz .LBB30_51
; %bb.50:
	s_add_u32 s0, s12, s22
	v_mov_b32_e32 v2, 0
	s_addc_u32 s1, s13, s23
	s_lshl_b64 s[2:3], s[20:21], 2
	v_mov_b32_e32 v3, 1
	s_add_u32 s2, s14, s2
	s_addc_u32 s3, s15, s3
	global_store_dwordx2 v2, v[0:1], s[0:1] glc slc
	s_waitcnt_vscnt null, 0x0
	global_store_dword v2, v3, s[2:3]
.LBB30_51:
	s_endpgm
	.section	.rodata,"a",@progbits
	.p2align	6, 0x0
	.amdhsa_kernel _ZN9rocsparseL12csrsv_kernelILj1024ELj64ELb1Ell21rocsparse_complex_numIfEEEvT3_NS_24const_host_device_scalarIT4_EEPKT2_PKS3_PKS5_SD_lPS5_PiSB_iPS3_21rocsparse_index_base_20rocsparse_fill_mode_20rocsparse_diag_type_b
		.amdhsa_group_segment_fixed_size 128
		.amdhsa_private_segment_fixed_size 0
		.amdhsa_kernarg_size 112
		.amdhsa_user_sgpr_count 6
		.amdhsa_user_sgpr_private_segment_buffer 1
		.amdhsa_user_sgpr_dispatch_ptr 0
		.amdhsa_user_sgpr_queue_ptr 0
		.amdhsa_user_sgpr_kernarg_segment_ptr 1
		.amdhsa_user_sgpr_dispatch_id 0
		.amdhsa_user_sgpr_flat_scratch_init 0
		.amdhsa_user_sgpr_private_segment_size 0
		.amdhsa_wavefront_size32 1
		.amdhsa_uses_dynamic_stack 0
		.amdhsa_system_sgpr_private_segment_wavefront_offset 0
		.amdhsa_system_sgpr_workgroup_id_x 1
		.amdhsa_system_sgpr_workgroup_id_y 0
		.amdhsa_system_sgpr_workgroup_id_z 0
		.amdhsa_system_sgpr_workgroup_info 0
		.amdhsa_system_vgpr_workitem_id 0
		.amdhsa_next_free_vgpr 16
		.amdhsa_next_free_sgpr 32
		.amdhsa_reserve_vcc 1
		.amdhsa_reserve_flat_scratch 0
		.amdhsa_float_round_mode_32 0
		.amdhsa_float_round_mode_16_64 0
		.amdhsa_float_denorm_mode_32 3
		.amdhsa_float_denorm_mode_16_64 3
		.amdhsa_dx10_clamp 1
		.amdhsa_ieee_mode 1
		.amdhsa_fp16_overflow 0
		.amdhsa_workgroup_processor_mode 1
		.amdhsa_memory_ordered 1
		.amdhsa_forward_progress 1
		.amdhsa_shared_vgpr_count 0
		.amdhsa_exception_fp_ieee_invalid_op 0
		.amdhsa_exception_fp_denorm_src 0
		.amdhsa_exception_fp_ieee_div_zero 0
		.amdhsa_exception_fp_ieee_overflow 0
		.amdhsa_exception_fp_ieee_underflow 0
		.amdhsa_exception_fp_ieee_inexact 0
		.amdhsa_exception_int_div_zero 0
	.end_amdhsa_kernel
	.section	.text._ZN9rocsparseL12csrsv_kernelILj1024ELj64ELb1Ell21rocsparse_complex_numIfEEEvT3_NS_24const_host_device_scalarIT4_EEPKT2_PKS3_PKS5_SD_lPS5_PiSB_iPS3_21rocsparse_index_base_20rocsparse_fill_mode_20rocsparse_diag_type_b,"axG",@progbits,_ZN9rocsparseL12csrsv_kernelILj1024ELj64ELb1Ell21rocsparse_complex_numIfEEEvT3_NS_24const_host_device_scalarIT4_EEPKT2_PKS3_PKS5_SD_lPS5_PiSB_iPS3_21rocsparse_index_base_20rocsparse_fill_mode_20rocsparse_diag_type_b,comdat
.Lfunc_end30:
	.size	_ZN9rocsparseL12csrsv_kernelILj1024ELj64ELb1Ell21rocsparse_complex_numIfEEEvT3_NS_24const_host_device_scalarIT4_EEPKT2_PKS3_PKS5_SD_lPS5_PiSB_iPS3_21rocsparse_index_base_20rocsparse_fill_mode_20rocsparse_diag_type_b, .Lfunc_end30-_ZN9rocsparseL12csrsv_kernelILj1024ELj64ELb1Ell21rocsparse_complex_numIfEEEvT3_NS_24const_host_device_scalarIT4_EEPKT2_PKS3_PKS5_SD_lPS5_PiSB_iPS3_21rocsparse_index_base_20rocsparse_fill_mode_20rocsparse_diag_type_b
                                        ; -- End function
	.set _ZN9rocsparseL12csrsv_kernelILj1024ELj64ELb1Ell21rocsparse_complex_numIfEEEvT3_NS_24const_host_device_scalarIT4_EEPKT2_PKS3_PKS5_SD_lPS5_PiSB_iPS3_21rocsparse_index_base_20rocsparse_fill_mode_20rocsparse_diag_type_b.num_vgpr, 16
	.set _ZN9rocsparseL12csrsv_kernelILj1024ELj64ELb1Ell21rocsparse_complex_numIfEEEvT3_NS_24const_host_device_scalarIT4_EEPKT2_PKS3_PKS5_SD_lPS5_PiSB_iPS3_21rocsparse_index_base_20rocsparse_fill_mode_20rocsparse_diag_type_b.num_agpr, 0
	.set _ZN9rocsparseL12csrsv_kernelILj1024ELj64ELb1Ell21rocsparse_complex_numIfEEEvT3_NS_24const_host_device_scalarIT4_EEPKT2_PKS3_PKS5_SD_lPS5_PiSB_iPS3_21rocsparse_index_base_20rocsparse_fill_mode_20rocsparse_diag_type_b.numbered_sgpr, 32
	.set _ZN9rocsparseL12csrsv_kernelILj1024ELj64ELb1Ell21rocsparse_complex_numIfEEEvT3_NS_24const_host_device_scalarIT4_EEPKT2_PKS3_PKS5_SD_lPS5_PiSB_iPS3_21rocsparse_index_base_20rocsparse_fill_mode_20rocsparse_diag_type_b.num_named_barrier, 0
	.set _ZN9rocsparseL12csrsv_kernelILj1024ELj64ELb1Ell21rocsparse_complex_numIfEEEvT3_NS_24const_host_device_scalarIT4_EEPKT2_PKS3_PKS5_SD_lPS5_PiSB_iPS3_21rocsparse_index_base_20rocsparse_fill_mode_20rocsparse_diag_type_b.private_seg_size, 0
	.set _ZN9rocsparseL12csrsv_kernelILj1024ELj64ELb1Ell21rocsparse_complex_numIfEEEvT3_NS_24const_host_device_scalarIT4_EEPKT2_PKS3_PKS5_SD_lPS5_PiSB_iPS3_21rocsparse_index_base_20rocsparse_fill_mode_20rocsparse_diag_type_b.uses_vcc, 1
	.set _ZN9rocsparseL12csrsv_kernelILj1024ELj64ELb1Ell21rocsparse_complex_numIfEEEvT3_NS_24const_host_device_scalarIT4_EEPKT2_PKS3_PKS5_SD_lPS5_PiSB_iPS3_21rocsparse_index_base_20rocsparse_fill_mode_20rocsparse_diag_type_b.uses_flat_scratch, 0
	.set _ZN9rocsparseL12csrsv_kernelILj1024ELj64ELb1Ell21rocsparse_complex_numIfEEEvT3_NS_24const_host_device_scalarIT4_EEPKT2_PKS3_PKS5_SD_lPS5_PiSB_iPS3_21rocsparse_index_base_20rocsparse_fill_mode_20rocsparse_diag_type_b.has_dyn_sized_stack, 0
	.set _ZN9rocsparseL12csrsv_kernelILj1024ELj64ELb1Ell21rocsparse_complex_numIfEEEvT3_NS_24const_host_device_scalarIT4_EEPKT2_PKS3_PKS5_SD_lPS5_PiSB_iPS3_21rocsparse_index_base_20rocsparse_fill_mode_20rocsparse_diag_type_b.has_recursion, 0
	.set _ZN9rocsparseL12csrsv_kernelILj1024ELj64ELb1Ell21rocsparse_complex_numIfEEEvT3_NS_24const_host_device_scalarIT4_EEPKT2_PKS3_PKS5_SD_lPS5_PiSB_iPS3_21rocsparse_index_base_20rocsparse_fill_mode_20rocsparse_diag_type_b.has_indirect_call, 0
	.section	.AMDGPU.csdata,"",@progbits
; Kernel info:
; codeLenInByte = 1860
; TotalNumSgprs: 34
; NumVgprs: 16
; ScratchSize: 0
; MemoryBound: 0
; FloatMode: 240
; IeeeMode: 1
; LDSByteSize: 128 bytes/workgroup (compile time only)
; SGPRBlocks: 0
; VGPRBlocks: 1
; NumSGPRsForWavesPerEU: 34
; NumVGPRsForWavesPerEU: 16
; Occupancy: 16
; WaveLimiterHint : 1
; COMPUTE_PGM_RSRC2:SCRATCH_EN: 0
; COMPUTE_PGM_RSRC2:USER_SGPR: 6
; COMPUTE_PGM_RSRC2:TRAP_HANDLER: 0
; COMPUTE_PGM_RSRC2:TGID_X_EN: 1
; COMPUTE_PGM_RSRC2:TGID_Y_EN: 0
; COMPUTE_PGM_RSRC2:TGID_Z_EN: 0
; COMPUTE_PGM_RSRC2:TIDIG_COMP_CNT: 0
	.section	.text._ZN9rocsparseL12csrsv_kernelILj1024ELj32ELb0Ell21rocsparse_complex_numIfEEEvT3_NS_24const_host_device_scalarIT4_EEPKT2_PKS3_PKS5_SD_lPS5_PiSB_iPS3_21rocsparse_index_base_20rocsparse_fill_mode_20rocsparse_diag_type_b,"axG",@progbits,_ZN9rocsparseL12csrsv_kernelILj1024ELj32ELb0Ell21rocsparse_complex_numIfEEEvT3_NS_24const_host_device_scalarIT4_EEPKT2_PKS3_PKS5_SD_lPS5_PiSB_iPS3_21rocsparse_index_base_20rocsparse_fill_mode_20rocsparse_diag_type_b,comdat
	.globl	_ZN9rocsparseL12csrsv_kernelILj1024ELj32ELb0Ell21rocsparse_complex_numIfEEEvT3_NS_24const_host_device_scalarIT4_EEPKT2_PKS3_PKS5_SD_lPS5_PiSB_iPS3_21rocsparse_index_base_20rocsparse_fill_mode_20rocsparse_diag_type_b ; -- Begin function _ZN9rocsparseL12csrsv_kernelILj1024ELj32ELb0Ell21rocsparse_complex_numIfEEEvT3_NS_24const_host_device_scalarIT4_EEPKT2_PKS3_PKS5_SD_lPS5_PiSB_iPS3_21rocsparse_index_base_20rocsparse_fill_mode_20rocsparse_diag_type_b
	.p2align	8
	.type	_ZN9rocsparseL12csrsv_kernelILj1024ELj32ELb0Ell21rocsparse_complex_numIfEEEvT3_NS_24const_host_device_scalarIT4_EEPKT2_PKS3_PKS5_SD_lPS5_PiSB_iPS3_21rocsparse_index_base_20rocsparse_fill_mode_20rocsparse_diag_type_b,@function
_ZN9rocsparseL12csrsv_kernelILj1024ELj32ELb0Ell21rocsparse_complex_numIfEEEvT3_NS_24const_host_device_scalarIT4_EEPKT2_PKS3_PKS5_SD_lPS5_PiSB_iPS3_21rocsparse_index_base_20rocsparse_fill_mode_20rocsparse_diag_type_b: ; @_ZN9rocsparseL12csrsv_kernelILj1024ELj32ELb0Ell21rocsparse_complex_numIfEEEvT3_NS_24const_host_device_scalarIT4_EEPKT2_PKS3_PKS5_SD_lPS5_PiSB_iPS3_21rocsparse_index_base_20rocsparse_fill_mode_20rocsparse_diag_type_b
; %bb.0:
	s_clause 0x1
	s_load_dwordx4 s[8:11], s[4:5], 0x60
	s_load_dwordx4 s[0:3], s[4:5], 0x0
	s_waitcnt lgkmcnt(0)
	s_bitcmp1_b32 s11, 0
	s_mov_b32 s24, s2
	s_cselect_b32 s11, -1, 0
	s_xor_b32 s7, s11, -1
	s_and_b32 vcc_lo, exec_lo, s11
	s_cbranch_vccnz .LBB31_2
; %bb.1:
	s_load_dword s24, s[2:3], 0x0
.LBB31_2:
	s_andn2_b32 vcc_lo, exec_lo, s7
	s_cbranch_vccnz .LBB31_4
; %bb.3:
	s_load_dword s3, s[2:3], 0x4
.LBB31_4:
	v_readfirstlane_b32 s2, v0
	s_lshl_b32 s6, s6, 5
	s_mov_b32 s7, 0
	s_lshr_b32 s11, s2, 5
	s_add_i32 s6, s11, s6
	v_cmp_le_i64_e64 s0, s[0:1], s[6:7]
	s_and_b32 vcc_lo, exec_lo, s0
	s_cbranch_vccnz .LBB31_49
; %bb.5:
	s_clause 0x1
	s_load_dword s0, s[4:5], 0x50
	s_load_dwordx2 s[12:13], s[4:5], 0x48
	s_lshl_b64 s[6:7], s[6:7], 3
	v_and_b32_e32 v8, 31, v0
	v_mov_b32_e32 v9, 0
	v_mov_b32_e32 v10, 0
	s_waitcnt lgkmcnt(0)
	s_ashr_i32 s1, s0, 31
	s_add_u32 s2, s12, s6
	s_addc_u32 s6, s13, s7
	s_lshl_b64 s[0:1], s[0:1], 3
	s_add_u32 s0, s2, s0
	s_addc_u32 s1, s6, s1
	s_load_dwordx2 s[20:21], s[0:1], 0x0
	s_load_dwordx2 s[0:1], s[4:5], 0x10
	s_waitcnt lgkmcnt(0)
	s_lshl_b64 s[22:23], s[20:21], 3
	s_add_u32 s0, s0, s22
	s_addc_u32 s1, s1, s23
	s_load_dwordx4 s[12:15], s[4:5], 0x38
	s_load_dwordx4 s[16:19], s[0:1], 0x0
	s_mov_b32 s0, exec_lo
	v_cmpx_eq_u32_e32 0, v8
	s_cbranch_execz .LBB31_7
; %bb.6:
	s_load_dwordx4 s[28:31], s[4:5], 0x28
	s_waitcnt lgkmcnt(0)
	s_mul_i32 s1, s20, s31
	s_mul_hi_u32 s2, s20, s30
	s_mul_i32 s7, s21, s30
	s_add_i32 s1, s2, s1
	s_mul_i32 s6, s20, s30
	s_add_i32 s7, s1, s7
	s_lshl_b64 s[6:7], s[6:7], 3
	s_add_u32 s6, s28, s6
	s_addc_u32 s7, s29, s7
	s_load_dwordx2 s[6:7], s[6:7], 0x0
	s_waitcnt lgkmcnt(0)
	v_mul_f32_e64 v9, s7, -s3
	v_mul_f32_e64 v10, s7, s24
	v_fmac_f32_e64 v9, s24, s6
	v_fmac_f32_e64 v10, s3, s6
.LBB31_7:
	s_or_b32 exec_lo, exec_lo, s0
	v_sub_co_u32 v0, s0, v8, s8
	v_sub_co_ci_u32_e64 v1, null, 0, 0, s0
	s_waitcnt lgkmcnt(0)
	s_sub_u32 s2, s18, s8
	v_add_co_u32 v0, vcc_lo, s16, v0
	v_add_co_ci_u32_e64 v1, null, s17, v1, vcc_lo
	s_subb_u32 s3, s19, 0
	s_mov_b32 s25, 0
	s_mov_b32 s24, exec_lo
	v_cmpx_gt_i64_e64 s[2:3], v[0:1]
	s_cbranch_execz .LBB31_45
; %bb.8:
	s_clause 0x1
	s_load_dwordx2 s[16:17], s[4:5], 0x58
	s_load_dwordx4 s[4:7], s[4:5], 0x18
	s_cmp_eq_u32 s10, 0
	v_mov_b32_e32 v11, 0
	s_cselect_b32 s26, -1, 0
	s_add_u32 s18, s20, s8
	s_addc_u32 s19, s21, 0
	s_lshl_b32 s27, s11, 3
	s_branch .LBB31_10
.LBB31_9:                               ;   in Loop: Header=BB31_10 Depth=1
	s_or_b32 exec_lo, exec_lo, s1
	s_and_b32 s0, exec_lo, s0
	s_or_b32 s25, s0, s25
	s_andn2_b32 exec_lo, exec_lo, s25
	s_cbranch_execz .LBB31_44
.LBB31_10:                              ; =>This Loop Header: Depth=1
                                        ;     Child Loop BB31_34 Depth 2
	v_lshlrev_b64 v[2:3], 3, v[0:1]
	s_waitcnt lgkmcnt(0)
	v_add_co_u32 v4, vcc_lo, s4, v2
	v_add_co_ci_u32_e64 v5, null, s5, v3, vcc_lo
	v_add_co_u32 v2, vcc_lo, s6, v2
	v_add_co_ci_u32_e64 v3, null, s7, v3, vcc_lo
	global_load_dwordx2 v[4:5], v[4:5], off slc
	global_load_dwordx2 v[2:3], v[2:3], off slc
	s_waitcnt vmcnt(1)
	v_sub_co_u32 v4, vcc_lo, v4, s8
	v_subrev_co_ci_u32_e64 v5, null, 0, v5, vcc_lo
	s_waitcnt vmcnt(0)
	v_cmp_eq_f32_e64 s0, 0, v2
	v_cmp_eq_f32_e64 s1, 0, v3
	v_cmp_eq_u64_e32 vcc_lo, s[20:21], v[4:5]
	s_and_b32 s1, s0, s1
	v_cmp_ne_u64_e64 s0, s[20:21], v[4:5]
	s_and_b32 s1, s1, vcc_lo
	s_and_b32 s1, s26, s1
	s_and_saveexec_b32 s28, s1
	s_cbranch_execz .LBB31_14
; %bb.11:                               ;   in Loop: Header=BB31_10 Depth=1
	v_mbcnt_lo_u32_b32 v2, exec_lo, 0
	s_mov_b32 s29, exec_lo
	v_cmpx_eq_u32_e32 0, v2
	s_cbranch_execz .LBB31_13
; %bb.12:                               ;   in Loop: Header=BB31_10 Depth=1
	v_mov_b32_e32 v2, s18
	v_mov_b32_e32 v3, s19
	global_atomic_umin_x2 v11, v[2:3], s[16:17]
.LBB31_13:                              ;   in Loop: Header=BB31_10 Depth=1
	s_or_b32 exec_lo, exec_lo, s29
	v_mov_b32_e32 v3, 0
	v_mov_b32_e32 v2, 1.0
.LBB31_14:                              ;   in Loop: Header=BB31_10 Depth=1
	s_or_b32 exec_lo, exec_lo, s28
	s_mov_b32 s1, -1
	s_mov_b32 s28, 0
	s_cmp_lt_i32 s9, 1
	s_mov_b32 s29, 0
	s_cbranch_scc1 .LBB31_24
; %bb.15:                               ;   in Loop: Header=BB31_10 Depth=1
	s_cmp_eq_u32 s9, 1
	s_mov_b32 s29, -1
	s_cbranch_scc0 .LBB31_23
; %bb.16:                               ;   in Loop: Header=BB31_10 Depth=1
	s_mov_b32 s29, 0
	s_mov_b32 s30, exec_lo
	v_cmpx_le_i64_e64 s[20:21], v[4:5]
	s_cbranch_execz .LBB31_22
; %bb.17:                               ;   in Loop: Header=BB31_10 Depth=1
	s_mov_b32 s29, -1
	s_and_saveexec_b32 s1, vcc_lo
	s_xor_b32 s1, exec_lo, s1
	s_cbranch_execz .LBB31_21
; %bb.18:                               ;   in Loop: Header=BB31_10 Depth=1
	s_andn2_b32 vcc_lo, exec_lo, s26
	s_cbranch_vccnz .LBB31_20
; %bb.19:                               ;   in Loop: Header=BB31_10 Depth=1
	v_mul_f32_e32 v6, v3, v3
	v_fmac_f32_e32 v6, v2, v2
	v_div_scale_f32 v7, null, v6, v6, 1.0
	v_div_scale_f32 v14, vcc_lo, 1.0, v6, 1.0
	v_rcp_f32_e32 v12, v7
	v_fma_f32 v13, -v7, v12, 1.0
	v_fmac_f32_e32 v12, v13, v12
	v_mul_f32_e32 v13, v14, v12
	v_fma_f32 v15, -v7, v13, v14
	v_fmac_f32_e32 v13, v15, v12
	v_fma_f32 v7, -v7, v13, v14
	v_div_fmas_f32 v7, v7, v12, v13
	v_fma_f32 v12, 0, v3, v2
	v_fma_f32 v13, v2, 0, -v3
	v_div_fixup_f32 v7, v7, v6, 1.0
	v_mul_f32_e32 v6, v12, v7
	v_mul_f32_e32 v7, v13, v7
	v_mov_b32_e32 v12, s27
	ds_write_b64 v12, v[6:7]
.LBB31_20:                              ;   in Loop: Header=BB31_10 Depth=1
	s_xor_b32 s29, exec_lo, -1
.LBB31_21:                              ;   in Loop: Header=BB31_10 Depth=1
	s_or_b32 exec_lo, exec_lo, s1
	s_and_b32 s29, s29, exec_lo
.LBB31_22:                              ;   in Loop: Header=BB31_10 Depth=1
	s_or_b32 exec_lo, exec_lo, s30
.LBB31_23:                              ;   in Loop: Header=BB31_10 Depth=1
	s_mov_b32 s1, 0
.LBB31_24:                              ;   in Loop: Header=BB31_10 Depth=1
	s_and_b32 vcc_lo, exec_lo, s1
	s_mov_b32 s1, 4
	s_cbranch_vccz .LBB31_31
; %bb.25:                               ;   in Loop: Header=BB31_10 Depth=1
	s_cmp_eq_u32 s9, 0
	s_cbranch_scc1 .LBB31_27
; %bb.26:                               ;   in Loop: Header=BB31_10 Depth=1
	s_mov_b32 s29, -1
	s_branch .LBB31_30
.LBB31_27:                              ;   in Loop: Header=BB31_10 Depth=1
	s_mov_b32 s29, 0
	s_mov_b32 s1, exec_lo
	v_cmpx_ge_i64_e64 s[20:21], v[4:5]
; %bb.28:                               ;   in Loop: Header=BB31_10 Depth=1
	s_mov_b32 s28, exec_lo
	s_and_b32 s29, s0, exec_lo
; %bb.29:                               ;   in Loop: Header=BB31_10 Depth=1
	s_or_b32 exec_lo, exec_lo, s1
.LBB31_30:                              ;   in Loop: Header=BB31_10 Depth=1
	s_mov_b32 s1, 2
.LBB31_31:                              ;   in Loop: Header=BB31_10 Depth=1
	v_mov_b32_e32 v6, s1
	v_mov_b32_e32 v12, v10
	;; [unrolled: 1-line block ×3, first 2 shown]
	s_and_saveexec_b32 s0, s29
	s_cbranch_execz .LBB31_36
; %bb.32:                               ;   in Loop: Header=BB31_10 Depth=1
	v_lshlrev_b64 v[6:7], 2, v[4:5]
	s_mov_b32 s1, exec_lo
	v_add_co_u32 v6, vcc_lo, s14, v6
	v_add_co_ci_u32_e64 v7, null, s15, v7, vcc_lo
	global_load_dword v12, v[6:7], off glc dlc
	s_waitcnt vmcnt(0)
	v_cmpx_eq_u32_e32 0, v12
	s_cbranch_execz .LBB31_35
; %bb.33:                               ;   in Loop: Header=BB31_10 Depth=1
	s_mov_b32 s29, 0
.LBB31_34:                              ;   Parent Loop BB31_10 Depth=1
                                        ; =>  This Inner Loop Header: Depth=2
	global_load_dword v12, v[6:7], off glc dlc
	s_waitcnt vmcnt(0)
	v_cmp_ne_u32_e32 vcc_lo, 0, v12
	s_or_b32 s29, vcc_lo, s29
	s_andn2_b32 exec_lo, exec_lo, s29
	s_cbranch_execnz .LBB31_34
.LBB31_35:                              ;   in Loop: Header=BB31_10 Depth=1
	s_or_b32 exec_lo, exec_lo, s1
	v_lshlrev_b64 v[4:5], 3, v[4:5]
	s_waitcnt lgkmcnt(0)
	s_waitcnt_vscnt null, 0x0
	buffer_gl1_inv
	buffer_gl0_inv
	v_mov_b32_e32 v6, 0
	s_andn2_b32 s28, s28, exec_lo
	v_add_co_u32 v4, vcc_lo, s12, v4
	v_add_co_ci_u32_e64 v5, null, s13, v5, vcc_lo
	global_load_dwordx2 v[4:5], v[4:5], off
	s_waitcnt vmcnt(0)
	v_fma_f32 v7, -v2, v4, v9
	v_fma_f32 v4, -v3, v4, v10
	v_fmac_f32_e32 v7, v3, v5
	v_fma_f32 v12, -v2, v5, v4
.LBB31_36:                              ;   in Loop: Header=BB31_10 Depth=1
	s_or_b32 exec_lo, exec_lo, s0
	s_and_saveexec_b32 s0, s28
	s_cbranch_execz .LBB31_40
; %bb.37:                               ;   in Loop: Header=BB31_10 Depth=1
	s_andn2_b32 vcc_lo, exec_lo, s26
	s_cbranch_vccnz .LBB31_39
; %bb.38:                               ;   in Loop: Header=BB31_10 Depth=1
	v_mul_f32_e32 v4, v3, v3
	v_fmac_f32_e32 v4, v2, v2
	v_div_scale_f32 v5, null, v4, v4, 1.0
	v_div_scale_f32 v12, vcc_lo, 1.0, v4, 1.0
	v_rcp_f32_e32 v6, v5
	v_fma_f32 v7, -v5, v6, 1.0
	v_fmac_f32_e32 v6, v7, v6
	v_mul_f32_e32 v7, v12, v6
	v_fma_f32 v13, -v5, v7, v12
	v_fmac_f32_e32 v7, v13, v6
	v_fma_f32 v5, -v5, v7, v12
	v_div_fmas_f32 v5, v5, v6, v7
	v_fma_f32 v6, 0, v3, v2
	v_fma_f32 v3, v2, 0, -v3
	v_div_fixup_f32 v4, v5, v4, 1.0
	v_mul_f32_e32 v2, v6, v4
	v_mul_f32_e32 v3, v3, v4
	v_mov_b32_e32 v4, s27
	ds_write_b64 v4, v[2:3]
.LBB31_39:                              ;   in Loop: Header=BB31_10 Depth=1
	v_mov_b32_e32 v6, 2
	v_mov_b32_e32 v7, v9
	;; [unrolled: 1-line block ×3, first 2 shown]
.LBB31_40:                              ;   in Loop: Header=BB31_10 Depth=1
	s_or_b32 exec_lo, exec_lo, s0
	v_mov_b32_e32 v10, v12
	v_mov_b32_e32 v9, v7
	s_mov_b32 s0, -1
	s_mov_b32 s28, -1
	s_mov_b32 s1, exec_lo
	v_cmpx_gt_i32_e32 4, v6
; %bb.41:                               ;   in Loop: Header=BB31_10 Depth=1
	v_cmp_eq_u32_e32 vcc_lo, 0, v6
	s_orn2_b32 s28, vcc_lo, exec_lo
; %bb.42:                               ;   in Loop: Header=BB31_10 Depth=1
	s_or_b32 exec_lo, exec_lo, s1
	s_and_saveexec_b32 s1, s28
	s_cbranch_execz .LBB31_9
; %bb.43:                               ;   in Loop: Header=BB31_10 Depth=1
	v_add_co_u32 v0, vcc_lo, v0, 32
	v_add_co_ci_u32_e64 v1, null, 0, v1, vcc_lo
	v_cmp_le_i64_e32 vcc_lo, s[2:3], v[0:1]
	s_orn2_b32 s0, vcc_lo, exec_lo
	s_branch .LBB31_9
.LBB31_44:
	s_or_b32 exec_lo, exec_lo, s25
.LBB31_45:
	s_or_b32 exec_lo, exec_lo, s24
	v_mbcnt_lo_u32_b32 v0, -1, 0
	s_cmp_lg_u32 s10, 0
	v_xor_b32_e32 v1, 16, v0
	v_xor_b32_e32 v3, 8, v0
	;; [unrolled: 1-line block ×3, first 2 shown]
	v_cmp_gt_i32_e32 vcc_lo, 32, v1
	v_cndmask_b32_e32 v1, v0, v1, vcc_lo
	v_cmp_gt_i32_e32 vcc_lo, 32, v3
	v_lshlrev_b32_e32 v1, 2, v1
	v_cndmask_b32_e32 v3, v0, v3, vcc_lo
	v_cmp_gt_i32_e32 vcc_lo, 32, v5
	ds_bpermute_b32 v2, v1, v9
	ds_bpermute_b32 v1, v1, v10
	v_lshlrev_b32_e32 v3, 2, v3
	v_cndmask_b32_e32 v5, v0, v5, vcc_lo
	v_lshlrev_b32_e32 v5, 2, v5
	s_waitcnt lgkmcnt(1)
	v_add_f32_e32 v2, v9, v2
	s_waitcnt lgkmcnt(0)
	v_add_f32_e32 v1, v10, v1
	ds_bpermute_b32 v4, v3, v2
	ds_bpermute_b32 v3, v3, v1
	s_waitcnt lgkmcnt(1)
	v_add_f32_e32 v2, v2, v4
	s_waitcnt lgkmcnt(0)
	v_add_f32_e32 v1, v1, v3
	ds_bpermute_b32 v3, v5, v2
	ds_bpermute_b32 v4, v5, v1
	v_xor_b32_e32 v5, 2, v0
	v_cmp_gt_i32_e32 vcc_lo, 32, v5
	v_cndmask_b32_e32 v5, v0, v5, vcc_lo
	v_lshlrev_b32_e32 v5, 2, v5
	s_waitcnt lgkmcnt(1)
	v_add_f32_e32 v2, v2, v3
	s_waitcnt lgkmcnt(0)
	v_add_f32_e32 v1, v1, v4
	ds_bpermute_b32 v3, v5, v2
	ds_bpermute_b32 v4, v5, v1
	v_xor_b32_e32 v5, 1, v0
	v_cmp_gt_i32_e32 vcc_lo, 32, v5
	v_cndmask_b32_e32 v0, v0, v5, vcc_lo
	v_lshlrev_b32_e32 v0, 2, v0
	s_waitcnt lgkmcnt(1)
	v_add_f32_e32 v2, v2, v3
	s_waitcnt lgkmcnt(0)
	v_add_f32_e32 v1, v1, v4
	ds_bpermute_b32 v3, v0, v2
	ds_bpermute_b32 v4, v0, v1
	s_waitcnt lgkmcnt(1)
	v_add_f32_e32 v0, v2, v3
	s_waitcnt lgkmcnt(0)
	v_add_f32_e32 v1, v1, v4
	s_cbranch_scc1 .LBB31_47
; %bb.46:
	s_lshl_b32 s0, s11, 3
	s_waitcnt_vscnt null, 0x0
	buffer_gl0_inv
	v_mov_b32_e32 v2, s0
	ds_read_b64 v[2:3], v2
	s_waitcnt lgkmcnt(0)
	v_mul_f32_e64 v4, v3, -v1
	v_mul_f32_e32 v3, v0, v3
	v_fmac_f32_e32 v4, v0, v2
	v_fmac_f32_e32 v3, v1, v2
	v_mov_b32_e32 v0, v4
	v_mov_b32_e32 v1, v3
.LBB31_47:
	s_mov_b32 s0, exec_lo
	v_cmpx_eq_u32_e32 31, v8
	s_cbranch_execz .LBB31_49
; %bb.48:
	s_add_u32 s0, s12, s22
	v_mov_b32_e32 v2, 0
	s_addc_u32 s1, s13, s23
	s_lshl_b64 s[2:3], s[20:21], 2
	v_mov_b32_e32 v3, 1
	s_add_u32 s2, s14, s2
	s_addc_u32 s3, s15, s3
	global_store_dwordx2 v2, v[0:1], s[0:1] glc slc
	s_waitcnt_vscnt null, 0x0
	global_store_dword v2, v3, s[2:3]
.LBB31_49:
	s_endpgm
	.section	.rodata,"a",@progbits
	.p2align	6, 0x0
	.amdhsa_kernel _ZN9rocsparseL12csrsv_kernelILj1024ELj32ELb0Ell21rocsparse_complex_numIfEEEvT3_NS_24const_host_device_scalarIT4_EEPKT2_PKS3_PKS5_SD_lPS5_PiSB_iPS3_21rocsparse_index_base_20rocsparse_fill_mode_20rocsparse_diag_type_b
		.amdhsa_group_segment_fixed_size 256
		.amdhsa_private_segment_fixed_size 0
		.amdhsa_kernarg_size 112
		.amdhsa_user_sgpr_count 6
		.amdhsa_user_sgpr_private_segment_buffer 1
		.amdhsa_user_sgpr_dispatch_ptr 0
		.amdhsa_user_sgpr_queue_ptr 0
		.amdhsa_user_sgpr_kernarg_segment_ptr 1
		.amdhsa_user_sgpr_dispatch_id 0
		.amdhsa_user_sgpr_flat_scratch_init 0
		.amdhsa_user_sgpr_private_segment_size 0
		.amdhsa_wavefront_size32 1
		.amdhsa_uses_dynamic_stack 0
		.amdhsa_system_sgpr_private_segment_wavefront_offset 0
		.amdhsa_system_sgpr_workgroup_id_x 1
		.amdhsa_system_sgpr_workgroup_id_y 0
		.amdhsa_system_sgpr_workgroup_id_z 0
		.amdhsa_system_sgpr_workgroup_info 0
		.amdhsa_system_vgpr_workitem_id 0
		.amdhsa_next_free_vgpr 16
		.amdhsa_next_free_sgpr 32
		.amdhsa_reserve_vcc 1
		.amdhsa_reserve_flat_scratch 0
		.amdhsa_float_round_mode_32 0
		.amdhsa_float_round_mode_16_64 0
		.amdhsa_float_denorm_mode_32 3
		.amdhsa_float_denorm_mode_16_64 3
		.amdhsa_dx10_clamp 1
		.amdhsa_ieee_mode 1
		.amdhsa_fp16_overflow 0
		.amdhsa_workgroup_processor_mode 1
		.amdhsa_memory_ordered 1
		.amdhsa_forward_progress 1
		.amdhsa_shared_vgpr_count 0
		.amdhsa_exception_fp_ieee_invalid_op 0
		.amdhsa_exception_fp_denorm_src 0
		.amdhsa_exception_fp_ieee_div_zero 0
		.amdhsa_exception_fp_ieee_overflow 0
		.amdhsa_exception_fp_ieee_underflow 0
		.amdhsa_exception_fp_ieee_inexact 0
		.amdhsa_exception_int_div_zero 0
	.end_amdhsa_kernel
	.section	.text._ZN9rocsparseL12csrsv_kernelILj1024ELj32ELb0Ell21rocsparse_complex_numIfEEEvT3_NS_24const_host_device_scalarIT4_EEPKT2_PKS3_PKS5_SD_lPS5_PiSB_iPS3_21rocsparse_index_base_20rocsparse_fill_mode_20rocsparse_diag_type_b,"axG",@progbits,_ZN9rocsparseL12csrsv_kernelILj1024ELj32ELb0Ell21rocsparse_complex_numIfEEEvT3_NS_24const_host_device_scalarIT4_EEPKT2_PKS3_PKS5_SD_lPS5_PiSB_iPS3_21rocsparse_index_base_20rocsparse_fill_mode_20rocsparse_diag_type_b,comdat
.Lfunc_end31:
	.size	_ZN9rocsparseL12csrsv_kernelILj1024ELj32ELb0Ell21rocsparse_complex_numIfEEEvT3_NS_24const_host_device_scalarIT4_EEPKT2_PKS3_PKS5_SD_lPS5_PiSB_iPS3_21rocsparse_index_base_20rocsparse_fill_mode_20rocsparse_diag_type_b, .Lfunc_end31-_ZN9rocsparseL12csrsv_kernelILj1024ELj32ELb0Ell21rocsparse_complex_numIfEEEvT3_NS_24const_host_device_scalarIT4_EEPKT2_PKS3_PKS5_SD_lPS5_PiSB_iPS3_21rocsparse_index_base_20rocsparse_fill_mode_20rocsparse_diag_type_b
                                        ; -- End function
	.set _ZN9rocsparseL12csrsv_kernelILj1024ELj32ELb0Ell21rocsparse_complex_numIfEEEvT3_NS_24const_host_device_scalarIT4_EEPKT2_PKS3_PKS5_SD_lPS5_PiSB_iPS3_21rocsparse_index_base_20rocsparse_fill_mode_20rocsparse_diag_type_b.num_vgpr, 16
	.set _ZN9rocsparseL12csrsv_kernelILj1024ELj32ELb0Ell21rocsparse_complex_numIfEEEvT3_NS_24const_host_device_scalarIT4_EEPKT2_PKS3_PKS5_SD_lPS5_PiSB_iPS3_21rocsparse_index_base_20rocsparse_fill_mode_20rocsparse_diag_type_b.num_agpr, 0
	.set _ZN9rocsparseL12csrsv_kernelILj1024ELj32ELb0Ell21rocsparse_complex_numIfEEEvT3_NS_24const_host_device_scalarIT4_EEPKT2_PKS3_PKS5_SD_lPS5_PiSB_iPS3_21rocsparse_index_base_20rocsparse_fill_mode_20rocsparse_diag_type_b.numbered_sgpr, 32
	.set _ZN9rocsparseL12csrsv_kernelILj1024ELj32ELb0Ell21rocsparse_complex_numIfEEEvT3_NS_24const_host_device_scalarIT4_EEPKT2_PKS3_PKS5_SD_lPS5_PiSB_iPS3_21rocsparse_index_base_20rocsparse_fill_mode_20rocsparse_diag_type_b.num_named_barrier, 0
	.set _ZN9rocsparseL12csrsv_kernelILj1024ELj32ELb0Ell21rocsparse_complex_numIfEEEvT3_NS_24const_host_device_scalarIT4_EEPKT2_PKS3_PKS5_SD_lPS5_PiSB_iPS3_21rocsparse_index_base_20rocsparse_fill_mode_20rocsparse_diag_type_b.private_seg_size, 0
	.set _ZN9rocsparseL12csrsv_kernelILj1024ELj32ELb0Ell21rocsparse_complex_numIfEEEvT3_NS_24const_host_device_scalarIT4_EEPKT2_PKS3_PKS5_SD_lPS5_PiSB_iPS3_21rocsparse_index_base_20rocsparse_fill_mode_20rocsparse_diag_type_b.uses_vcc, 1
	.set _ZN9rocsparseL12csrsv_kernelILj1024ELj32ELb0Ell21rocsparse_complex_numIfEEEvT3_NS_24const_host_device_scalarIT4_EEPKT2_PKS3_PKS5_SD_lPS5_PiSB_iPS3_21rocsparse_index_base_20rocsparse_fill_mode_20rocsparse_diag_type_b.uses_flat_scratch, 0
	.set _ZN9rocsparseL12csrsv_kernelILj1024ELj32ELb0Ell21rocsparse_complex_numIfEEEvT3_NS_24const_host_device_scalarIT4_EEPKT2_PKS3_PKS5_SD_lPS5_PiSB_iPS3_21rocsparse_index_base_20rocsparse_fill_mode_20rocsparse_diag_type_b.has_dyn_sized_stack, 0
	.set _ZN9rocsparseL12csrsv_kernelILj1024ELj32ELb0Ell21rocsparse_complex_numIfEEEvT3_NS_24const_host_device_scalarIT4_EEPKT2_PKS3_PKS5_SD_lPS5_PiSB_iPS3_21rocsparse_index_base_20rocsparse_fill_mode_20rocsparse_diag_type_b.has_recursion, 0
	.set _ZN9rocsparseL12csrsv_kernelILj1024ELj32ELb0Ell21rocsparse_complex_numIfEEEvT3_NS_24const_host_device_scalarIT4_EEPKT2_PKS3_PKS5_SD_lPS5_PiSB_iPS3_21rocsparse_index_base_20rocsparse_fill_mode_20rocsparse_diag_type_b.has_indirect_call, 0
	.section	.AMDGPU.csdata,"",@progbits
; Kernel info:
; codeLenInByte = 1728
; TotalNumSgprs: 34
; NumVgprs: 16
; ScratchSize: 0
; MemoryBound: 0
; FloatMode: 240
; IeeeMode: 1
; LDSByteSize: 256 bytes/workgroup (compile time only)
; SGPRBlocks: 0
; VGPRBlocks: 1
; NumSGPRsForWavesPerEU: 34
; NumVGPRsForWavesPerEU: 16
; Occupancy: 16
; WaveLimiterHint : 1
; COMPUTE_PGM_RSRC2:SCRATCH_EN: 0
; COMPUTE_PGM_RSRC2:USER_SGPR: 6
; COMPUTE_PGM_RSRC2:TRAP_HANDLER: 0
; COMPUTE_PGM_RSRC2:TGID_X_EN: 1
; COMPUTE_PGM_RSRC2:TGID_Y_EN: 0
; COMPUTE_PGM_RSRC2:TGID_Z_EN: 0
; COMPUTE_PGM_RSRC2:TIDIG_COMP_CNT: 0
	.section	.text._ZN9rocsparseL12csrsv_kernelILj1024ELj64ELb0Ell21rocsparse_complex_numIfEEEvT3_NS_24const_host_device_scalarIT4_EEPKT2_PKS3_PKS5_SD_lPS5_PiSB_iPS3_21rocsparse_index_base_20rocsparse_fill_mode_20rocsparse_diag_type_b,"axG",@progbits,_ZN9rocsparseL12csrsv_kernelILj1024ELj64ELb0Ell21rocsparse_complex_numIfEEEvT3_NS_24const_host_device_scalarIT4_EEPKT2_PKS3_PKS5_SD_lPS5_PiSB_iPS3_21rocsparse_index_base_20rocsparse_fill_mode_20rocsparse_diag_type_b,comdat
	.globl	_ZN9rocsparseL12csrsv_kernelILj1024ELj64ELb0Ell21rocsparse_complex_numIfEEEvT3_NS_24const_host_device_scalarIT4_EEPKT2_PKS3_PKS5_SD_lPS5_PiSB_iPS3_21rocsparse_index_base_20rocsparse_fill_mode_20rocsparse_diag_type_b ; -- Begin function _ZN9rocsparseL12csrsv_kernelILj1024ELj64ELb0Ell21rocsparse_complex_numIfEEEvT3_NS_24const_host_device_scalarIT4_EEPKT2_PKS3_PKS5_SD_lPS5_PiSB_iPS3_21rocsparse_index_base_20rocsparse_fill_mode_20rocsparse_diag_type_b
	.p2align	8
	.type	_ZN9rocsparseL12csrsv_kernelILj1024ELj64ELb0Ell21rocsparse_complex_numIfEEEvT3_NS_24const_host_device_scalarIT4_EEPKT2_PKS3_PKS5_SD_lPS5_PiSB_iPS3_21rocsparse_index_base_20rocsparse_fill_mode_20rocsparse_diag_type_b,@function
_ZN9rocsparseL12csrsv_kernelILj1024ELj64ELb0Ell21rocsparse_complex_numIfEEEvT3_NS_24const_host_device_scalarIT4_EEPKT2_PKS3_PKS5_SD_lPS5_PiSB_iPS3_21rocsparse_index_base_20rocsparse_fill_mode_20rocsparse_diag_type_b: ; @_ZN9rocsparseL12csrsv_kernelILj1024ELj64ELb0Ell21rocsparse_complex_numIfEEEvT3_NS_24const_host_device_scalarIT4_EEPKT2_PKS3_PKS5_SD_lPS5_PiSB_iPS3_21rocsparse_index_base_20rocsparse_fill_mode_20rocsparse_diag_type_b
; %bb.0:
	s_clause 0x1
	s_load_dwordx4 s[8:11], s[4:5], 0x60
	s_load_dwordx4 s[0:3], s[4:5], 0x0
	s_waitcnt lgkmcnt(0)
	s_bitcmp1_b32 s11, 0
	s_mov_b32 s24, s2
	s_cselect_b32 s11, -1, 0
	s_xor_b32 s7, s11, -1
	s_and_b32 vcc_lo, exec_lo, s11
	s_cbranch_vccnz .LBB32_2
; %bb.1:
	s_load_dword s24, s[2:3], 0x0
.LBB32_2:
	s_andn2_b32 vcc_lo, exec_lo, s7
	s_cbranch_vccnz .LBB32_4
; %bb.3:
	s_load_dword s3, s[2:3], 0x4
.LBB32_4:
	v_readfirstlane_b32 s2, v0
	s_lshl_b32 s6, s6, 4
	s_mov_b32 s7, 0
	s_lshr_b32 s11, s2, 6
	s_add_i32 s6, s11, s6
	v_cmp_le_i64_e64 s0, s[0:1], s[6:7]
	s_and_b32 vcc_lo, exec_lo, s0
	s_cbranch_vccnz .LBB32_49
; %bb.5:
	s_clause 0x1
	s_load_dword s0, s[4:5], 0x50
	s_load_dwordx2 s[12:13], s[4:5], 0x48
	s_lshl_b64 s[6:7], s[6:7], 3
	v_and_b32_e32 v8, 63, v0
	v_mov_b32_e32 v9, 0
	v_mov_b32_e32 v10, 0
	s_waitcnt lgkmcnt(0)
	s_ashr_i32 s1, s0, 31
	s_add_u32 s2, s12, s6
	s_addc_u32 s6, s13, s7
	s_lshl_b64 s[0:1], s[0:1], 3
	s_add_u32 s0, s2, s0
	s_addc_u32 s1, s6, s1
	s_load_dwordx2 s[20:21], s[0:1], 0x0
	s_load_dwordx2 s[0:1], s[4:5], 0x10
	s_waitcnt lgkmcnt(0)
	s_lshl_b64 s[22:23], s[20:21], 3
	s_add_u32 s0, s0, s22
	s_addc_u32 s1, s1, s23
	s_load_dwordx4 s[12:15], s[4:5], 0x38
	s_load_dwordx4 s[16:19], s[0:1], 0x0
	s_mov_b32 s0, exec_lo
	v_cmpx_eq_u32_e32 0, v8
	s_cbranch_execz .LBB32_7
; %bb.6:
	s_load_dwordx4 s[28:31], s[4:5], 0x28
	s_waitcnt lgkmcnt(0)
	s_mul_i32 s1, s20, s31
	s_mul_hi_u32 s2, s20, s30
	s_mul_i32 s7, s21, s30
	s_add_i32 s1, s2, s1
	s_mul_i32 s6, s20, s30
	s_add_i32 s7, s1, s7
	s_lshl_b64 s[6:7], s[6:7], 3
	s_add_u32 s6, s28, s6
	s_addc_u32 s7, s29, s7
	s_load_dwordx2 s[6:7], s[6:7], 0x0
	s_waitcnt lgkmcnt(0)
	v_mul_f32_e64 v9, s7, -s3
	v_mul_f32_e64 v10, s7, s24
	v_fmac_f32_e64 v9, s24, s6
	v_fmac_f32_e64 v10, s3, s6
.LBB32_7:
	s_or_b32 exec_lo, exec_lo, s0
	v_sub_co_u32 v0, s0, v8, s8
	v_sub_co_ci_u32_e64 v1, null, 0, 0, s0
	s_waitcnt lgkmcnt(0)
	s_sub_u32 s2, s18, s8
	v_add_co_u32 v0, vcc_lo, s16, v0
	v_add_co_ci_u32_e64 v1, null, s17, v1, vcc_lo
	s_subb_u32 s3, s19, 0
	s_mov_b32 s25, 0
	s_mov_b32 s24, exec_lo
	v_cmpx_gt_i64_e64 s[2:3], v[0:1]
	s_cbranch_execz .LBB32_45
; %bb.8:
	s_clause 0x1
	s_load_dwordx2 s[16:17], s[4:5], 0x58
	s_load_dwordx4 s[4:7], s[4:5], 0x18
	s_cmp_eq_u32 s10, 0
	v_mov_b32_e32 v11, 0
	s_cselect_b32 s26, -1, 0
	s_add_u32 s18, s20, s8
	s_addc_u32 s19, s21, 0
	s_lshl_b32 s27, s11, 3
	s_branch .LBB32_10
.LBB32_9:                               ;   in Loop: Header=BB32_10 Depth=1
	s_or_b32 exec_lo, exec_lo, s1
	s_and_b32 s0, exec_lo, s0
	s_or_b32 s25, s0, s25
	s_andn2_b32 exec_lo, exec_lo, s25
	s_cbranch_execz .LBB32_44
.LBB32_10:                              ; =>This Loop Header: Depth=1
                                        ;     Child Loop BB32_34 Depth 2
	v_lshlrev_b64 v[2:3], 3, v[0:1]
	s_waitcnt lgkmcnt(0)
	v_add_co_u32 v4, vcc_lo, s4, v2
	v_add_co_ci_u32_e64 v5, null, s5, v3, vcc_lo
	v_add_co_u32 v2, vcc_lo, s6, v2
	v_add_co_ci_u32_e64 v3, null, s7, v3, vcc_lo
	global_load_dwordx2 v[4:5], v[4:5], off slc
	global_load_dwordx2 v[2:3], v[2:3], off slc
	s_waitcnt vmcnt(1)
	v_sub_co_u32 v4, vcc_lo, v4, s8
	v_subrev_co_ci_u32_e64 v5, null, 0, v5, vcc_lo
	s_waitcnt vmcnt(0)
	v_cmp_eq_f32_e64 s0, 0, v2
	v_cmp_eq_f32_e64 s1, 0, v3
	v_cmp_eq_u64_e32 vcc_lo, s[20:21], v[4:5]
	s_and_b32 s1, s0, s1
	v_cmp_ne_u64_e64 s0, s[20:21], v[4:5]
	s_and_b32 s1, s1, vcc_lo
	s_and_b32 s1, s26, s1
	s_and_saveexec_b32 s28, s1
	s_cbranch_execz .LBB32_14
; %bb.11:                               ;   in Loop: Header=BB32_10 Depth=1
	v_mbcnt_lo_u32_b32 v2, exec_lo, 0
	s_mov_b32 s29, exec_lo
	v_cmpx_eq_u32_e32 0, v2
	s_cbranch_execz .LBB32_13
; %bb.12:                               ;   in Loop: Header=BB32_10 Depth=1
	v_mov_b32_e32 v2, s18
	v_mov_b32_e32 v3, s19
	global_atomic_umin_x2 v11, v[2:3], s[16:17]
.LBB32_13:                              ;   in Loop: Header=BB32_10 Depth=1
	s_or_b32 exec_lo, exec_lo, s29
	v_mov_b32_e32 v3, 0
	v_mov_b32_e32 v2, 1.0
.LBB32_14:                              ;   in Loop: Header=BB32_10 Depth=1
	s_or_b32 exec_lo, exec_lo, s28
	s_mov_b32 s1, -1
	s_mov_b32 s28, 0
	s_cmp_lt_i32 s9, 1
	s_mov_b32 s29, 0
	s_cbranch_scc1 .LBB32_24
; %bb.15:                               ;   in Loop: Header=BB32_10 Depth=1
	s_cmp_eq_u32 s9, 1
	s_mov_b32 s29, -1
	s_cbranch_scc0 .LBB32_23
; %bb.16:                               ;   in Loop: Header=BB32_10 Depth=1
	s_mov_b32 s29, 0
	s_mov_b32 s30, exec_lo
	v_cmpx_le_i64_e64 s[20:21], v[4:5]
	s_cbranch_execz .LBB32_22
; %bb.17:                               ;   in Loop: Header=BB32_10 Depth=1
	s_mov_b32 s29, -1
	s_and_saveexec_b32 s1, vcc_lo
	s_xor_b32 s1, exec_lo, s1
	s_cbranch_execz .LBB32_21
; %bb.18:                               ;   in Loop: Header=BB32_10 Depth=1
	s_andn2_b32 vcc_lo, exec_lo, s26
	s_cbranch_vccnz .LBB32_20
; %bb.19:                               ;   in Loop: Header=BB32_10 Depth=1
	v_mul_f32_e32 v6, v3, v3
	v_fmac_f32_e32 v6, v2, v2
	v_div_scale_f32 v7, null, v6, v6, 1.0
	v_div_scale_f32 v14, vcc_lo, 1.0, v6, 1.0
	v_rcp_f32_e32 v12, v7
	v_fma_f32 v13, -v7, v12, 1.0
	v_fmac_f32_e32 v12, v13, v12
	v_mul_f32_e32 v13, v14, v12
	v_fma_f32 v15, -v7, v13, v14
	v_fmac_f32_e32 v13, v15, v12
	v_fma_f32 v7, -v7, v13, v14
	v_div_fmas_f32 v7, v7, v12, v13
	v_fma_f32 v12, 0, v3, v2
	v_fma_f32 v13, v2, 0, -v3
	v_div_fixup_f32 v7, v7, v6, 1.0
	v_mul_f32_e32 v6, v12, v7
	v_mul_f32_e32 v7, v13, v7
	v_mov_b32_e32 v12, s27
	ds_write_b64 v12, v[6:7]
.LBB32_20:                              ;   in Loop: Header=BB32_10 Depth=1
	s_xor_b32 s29, exec_lo, -1
.LBB32_21:                              ;   in Loop: Header=BB32_10 Depth=1
	s_or_b32 exec_lo, exec_lo, s1
	s_and_b32 s29, s29, exec_lo
.LBB32_22:                              ;   in Loop: Header=BB32_10 Depth=1
	s_or_b32 exec_lo, exec_lo, s30
.LBB32_23:                              ;   in Loop: Header=BB32_10 Depth=1
	s_mov_b32 s1, 0
.LBB32_24:                              ;   in Loop: Header=BB32_10 Depth=1
	s_and_b32 vcc_lo, exec_lo, s1
	s_mov_b32 s1, 4
	s_cbranch_vccz .LBB32_31
; %bb.25:                               ;   in Loop: Header=BB32_10 Depth=1
	s_cmp_eq_u32 s9, 0
	s_cbranch_scc1 .LBB32_27
; %bb.26:                               ;   in Loop: Header=BB32_10 Depth=1
	s_mov_b32 s29, -1
	s_branch .LBB32_30
.LBB32_27:                              ;   in Loop: Header=BB32_10 Depth=1
	s_mov_b32 s29, 0
	s_mov_b32 s1, exec_lo
	v_cmpx_ge_i64_e64 s[20:21], v[4:5]
; %bb.28:                               ;   in Loop: Header=BB32_10 Depth=1
	s_mov_b32 s28, exec_lo
	s_and_b32 s29, s0, exec_lo
; %bb.29:                               ;   in Loop: Header=BB32_10 Depth=1
	s_or_b32 exec_lo, exec_lo, s1
.LBB32_30:                              ;   in Loop: Header=BB32_10 Depth=1
	s_mov_b32 s1, 2
.LBB32_31:                              ;   in Loop: Header=BB32_10 Depth=1
	v_mov_b32_e32 v6, s1
	v_mov_b32_e32 v12, v10
	;; [unrolled: 1-line block ×3, first 2 shown]
	s_and_saveexec_b32 s0, s29
	s_cbranch_execz .LBB32_36
; %bb.32:                               ;   in Loop: Header=BB32_10 Depth=1
	v_lshlrev_b64 v[6:7], 2, v[4:5]
	s_mov_b32 s1, exec_lo
	v_add_co_u32 v6, vcc_lo, s14, v6
	v_add_co_ci_u32_e64 v7, null, s15, v7, vcc_lo
	global_load_dword v12, v[6:7], off glc dlc
	s_waitcnt vmcnt(0)
	v_cmpx_eq_u32_e32 0, v12
	s_cbranch_execz .LBB32_35
; %bb.33:                               ;   in Loop: Header=BB32_10 Depth=1
	s_mov_b32 s29, 0
.LBB32_34:                              ;   Parent Loop BB32_10 Depth=1
                                        ; =>  This Inner Loop Header: Depth=2
	global_load_dword v12, v[6:7], off glc dlc
	s_waitcnt vmcnt(0)
	v_cmp_ne_u32_e32 vcc_lo, 0, v12
	s_or_b32 s29, vcc_lo, s29
	s_andn2_b32 exec_lo, exec_lo, s29
	s_cbranch_execnz .LBB32_34
.LBB32_35:                              ;   in Loop: Header=BB32_10 Depth=1
	s_or_b32 exec_lo, exec_lo, s1
	v_lshlrev_b64 v[4:5], 3, v[4:5]
	s_waitcnt lgkmcnt(0)
	s_waitcnt_vscnt null, 0x0
	buffer_gl1_inv
	buffer_gl0_inv
	v_mov_b32_e32 v6, 0
	s_andn2_b32 s28, s28, exec_lo
	v_add_co_u32 v4, vcc_lo, s12, v4
	v_add_co_ci_u32_e64 v5, null, s13, v5, vcc_lo
	global_load_dwordx2 v[4:5], v[4:5], off
	s_waitcnt vmcnt(0)
	v_fma_f32 v7, -v2, v4, v9
	v_fma_f32 v4, -v3, v4, v10
	v_fmac_f32_e32 v7, v3, v5
	v_fma_f32 v12, -v2, v5, v4
.LBB32_36:                              ;   in Loop: Header=BB32_10 Depth=1
	s_or_b32 exec_lo, exec_lo, s0
	s_and_saveexec_b32 s0, s28
	s_cbranch_execz .LBB32_40
; %bb.37:                               ;   in Loop: Header=BB32_10 Depth=1
	s_andn2_b32 vcc_lo, exec_lo, s26
	s_cbranch_vccnz .LBB32_39
; %bb.38:                               ;   in Loop: Header=BB32_10 Depth=1
	v_mul_f32_e32 v4, v3, v3
	v_fmac_f32_e32 v4, v2, v2
	v_div_scale_f32 v5, null, v4, v4, 1.0
	v_div_scale_f32 v12, vcc_lo, 1.0, v4, 1.0
	v_rcp_f32_e32 v6, v5
	v_fma_f32 v7, -v5, v6, 1.0
	v_fmac_f32_e32 v6, v7, v6
	v_mul_f32_e32 v7, v12, v6
	v_fma_f32 v13, -v5, v7, v12
	v_fmac_f32_e32 v7, v13, v6
	v_fma_f32 v5, -v5, v7, v12
	v_div_fmas_f32 v5, v5, v6, v7
	v_fma_f32 v6, 0, v3, v2
	v_fma_f32 v3, v2, 0, -v3
	v_div_fixup_f32 v4, v5, v4, 1.0
	v_mul_f32_e32 v2, v6, v4
	v_mul_f32_e32 v3, v3, v4
	v_mov_b32_e32 v4, s27
	ds_write_b64 v4, v[2:3]
.LBB32_39:                              ;   in Loop: Header=BB32_10 Depth=1
	v_mov_b32_e32 v6, 2
	v_mov_b32_e32 v7, v9
	;; [unrolled: 1-line block ×3, first 2 shown]
.LBB32_40:                              ;   in Loop: Header=BB32_10 Depth=1
	s_or_b32 exec_lo, exec_lo, s0
	v_mov_b32_e32 v10, v12
	v_mov_b32_e32 v9, v7
	s_mov_b32 s0, -1
	s_mov_b32 s28, -1
	s_mov_b32 s1, exec_lo
	v_cmpx_gt_i32_e32 4, v6
; %bb.41:                               ;   in Loop: Header=BB32_10 Depth=1
	v_cmp_eq_u32_e32 vcc_lo, 0, v6
	s_orn2_b32 s28, vcc_lo, exec_lo
; %bb.42:                               ;   in Loop: Header=BB32_10 Depth=1
	s_or_b32 exec_lo, exec_lo, s1
	s_and_saveexec_b32 s1, s28
	s_cbranch_execz .LBB32_9
; %bb.43:                               ;   in Loop: Header=BB32_10 Depth=1
	v_add_co_u32 v0, vcc_lo, v0, 64
	v_add_co_ci_u32_e64 v1, null, 0, v1, vcc_lo
	v_cmp_le_i64_e32 vcc_lo, s[2:3], v[0:1]
	s_orn2_b32 s0, vcc_lo, exec_lo
	s_branch .LBB32_9
.LBB32_44:
	s_or_b32 exec_lo, exec_lo, s25
.LBB32_45:
	s_or_b32 exec_lo, exec_lo, s24
	v_mbcnt_lo_u32_b32 v0, -1, 0
	s_cmp_lg_u32 s10, 0
	v_or_b32_e32 v1, 32, v0
	v_xor_b32_e32 v3, 16, v0
	v_xor_b32_e32 v5, 8, v0
	v_cmp_gt_i32_e32 vcc_lo, 32, v1
	v_cndmask_b32_e32 v1, v0, v1, vcc_lo
	v_cmp_gt_i32_e32 vcc_lo, 32, v3
	v_lshlrev_b32_e32 v1, 2, v1
	v_cndmask_b32_e32 v3, v0, v3, vcc_lo
	v_cmp_gt_i32_e32 vcc_lo, 32, v5
	ds_bpermute_b32 v2, v1, v9
	ds_bpermute_b32 v1, v1, v10
	v_lshlrev_b32_e32 v3, 2, v3
	v_cndmask_b32_e32 v5, v0, v5, vcc_lo
	v_lshlrev_b32_e32 v5, 2, v5
	s_waitcnt lgkmcnt(1)
	v_add_f32_e32 v2, v9, v2
	s_waitcnt lgkmcnt(0)
	v_add_f32_e32 v1, v10, v1
	ds_bpermute_b32 v4, v3, v2
	ds_bpermute_b32 v3, v3, v1
	s_waitcnt lgkmcnt(1)
	v_add_f32_e32 v2, v2, v4
	s_waitcnt lgkmcnt(0)
	v_add_f32_e32 v1, v1, v3
	ds_bpermute_b32 v3, v5, v2
	ds_bpermute_b32 v4, v5, v1
	v_xor_b32_e32 v5, 4, v0
	v_cmp_gt_i32_e32 vcc_lo, 32, v5
	v_cndmask_b32_e32 v5, v0, v5, vcc_lo
	v_lshlrev_b32_e32 v5, 2, v5
	s_waitcnt lgkmcnt(1)
	v_add_f32_e32 v2, v2, v3
	s_waitcnt lgkmcnt(0)
	v_add_f32_e32 v1, v1, v4
	ds_bpermute_b32 v3, v5, v2
	ds_bpermute_b32 v4, v5, v1
	v_xor_b32_e32 v5, 2, v0
	v_cmp_gt_i32_e32 vcc_lo, 32, v5
	v_cndmask_b32_e32 v5, v0, v5, vcc_lo
	v_lshlrev_b32_e32 v5, 2, v5
	;; [unrolled: 10-line block ×3, first 2 shown]
	s_waitcnt lgkmcnt(1)
	v_add_f32_e32 v2, v2, v3
	s_waitcnt lgkmcnt(0)
	v_add_f32_e32 v1, v1, v4
	ds_bpermute_b32 v3, v0, v2
	ds_bpermute_b32 v4, v0, v1
	s_waitcnt lgkmcnt(1)
	v_add_f32_e32 v0, v2, v3
	s_waitcnt lgkmcnt(0)
	v_add_f32_e32 v1, v1, v4
	s_cbranch_scc1 .LBB32_47
; %bb.46:
	s_lshl_b32 s0, s11, 3
	s_waitcnt_vscnt null, 0x0
	buffer_gl0_inv
	v_mov_b32_e32 v2, s0
	ds_read_b64 v[2:3], v2
	s_waitcnt lgkmcnt(0)
	v_mul_f32_e64 v4, v3, -v1
	v_mul_f32_e32 v3, v0, v3
	v_fmac_f32_e32 v4, v0, v2
	v_fmac_f32_e32 v3, v1, v2
	v_mov_b32_e32 v0, v4
	v_mov_b32_e32 v1, v3
.LBB32_47:
	s_mov_b32 s0, exec_lo
	v_cmpx_eq_u32_e32 63, v8
	s_cbranch_execz .LBB32_49
; %bb.48:
	s_add_u32 s0, s12, s22
	v_mov_b32_e32 v2, 0
	s_addc_u32 s1, s13, s23
	s_lshl_b64 s[2:3], s[20:21], 2
	v_mov_b32_e32 v3, 1
	s_add_u32 s2, s14, s2
	s_addc_u32 s3, s15, s3
	global_store_dwordx2 v2, v[0:1], s[0:1] glc slc
	s_waitcnt_vscnt null, 0x0
	global_store_dword v2, v3, s[2:3]
.LBB32_49:
	s_endpgm
	.section	.rodata,"a",@progbits
	.p2align	6, 0x0
	.amdhsa_kernel _ZN9rocsparseL12csrsv_kernelILj1024ELj64ELb0Ell21rocsparse_complex_numIfEEEvT3_NS_24const_host_device_scalarIT4_EEPKT2_PKS3_PKS5_SD_lPS5_PiSB_iPS3_21rocsparse_index_base_20rocsparse_fill_mode_20rocsparse_diag_type_b
		.amdhsa_group_segment_fixed_size 128
		.amdhsa_private_segment_fixed_size 0
		.amdhsa_kernarg_size 112
		.amdhsa_user_sgpr_count 6
		.amdhsa_user_sgpr_private_segment_buffer 1
		.amdhsa_user_sgpr_dispatch_ptr 0
		.amdhsa_user_sgpr_queue_ptr 0
		.amdhsa_user_sgpr_kernarg_segment_ptr 1
		.amdhsa_user_sgpr_dispatch_id 0
		.amdhsa_user_sgpr_flat_scratch_init 0
		.amdhsa_user_sgpr_private_segment_size 0
		.amdhsa_wavefront_size32 1
		.amdhsa_uses_dynamic_stack 0
		.amdhsa_system_sgpr_private_segment_wavefront_offset 0
		.amdhsa_system_sgpr_workgroup_id_x 1
		.amdhsa_system_sgpr_workgroup_id_y 0
		.amdhsa_system_sgpr_workgroup_id_z 0
		.amdhsa_system_sgpr_workgroup_info 0
		.amdhsa_system_vgpr_workitem_id 0
		.amdhsa_next_free_vgpr 16
		.amdhsa_next_free_sgpr 32
		.amdhsa_reserve_vcc 1
		.amdhsa_reserve_flat_scratch 0
		.amdhsa_float_round_mode_32 0
		.amdhsa_float_round_mode_16_64 0
		.amdhsa_float_denorm_mode_32 3
		.amdhsa_float_denorm_mode_16_64 3
		.amdhsa_dx10_clamp 1
		.amdhsa_ieee_mode 1
		.amdhsa_fp16_overflow 0
		.amdhsa_workgroup_processor_mode 1
		.amdhsa_memory_ordered 1
		.amdhsa_forward_progress 1
		.amdhsa_shared_vgpr_count 0
		.amdhsa_exception_fp_ieee_invalid_op 0
		.amdhsa_exception_fp_denorm_src 0
		.amdhsa_exception_fp_ieee_div_zero 0
		.amdhsa_exception_fp_ieee_overflow 0
		.amdhsa_exception_fp_ieee_underflow 0
		.amdhsa_exception_fp_ieee_inexact 0
		.amdhsa_exception_int_div_zero 0
	.end_amdhsa_kernel
	.section	.text._ZN9rocsparseL12csrsv_kernelILj1024ELj64ELb0Ell21rocsparse_complex_numIfEEEvT3_NS_24const_host_device_scalarIT4_EEPKT2_PKS3_PKS5_SD_lPS5_PiSB_iPS3_21rocsparse_index_base_20rocsparse_fill_mode_20rocsparse_diag_type_b,"axG",@progbits,_ZN9rocsparseL12csrsv_kernelILj1024ELj64ELb0Ell21rocsparse_complex_numIfEEEvT3_NS_24const_host_device_scalarIT4_EEPKT2_PKS3_PKS5_SD_lPS5_PiSB_iPS3_21rocsparse_index_base_20rocsparse_fill_mode_20rocsparse_diag_type_b,comdat
.Lfunc_end32:
	.size	_ZN9rocsparseL12csrsv_kernelILj1024ELj64ELb0Ell21rocsparse_complex_numIfEEEvT3_NS_24const_host_device_scalarIT4_EEPKT2_PKS3_PKS5_SD_lPS5_PiSB_iPS3_21rocsparse_index_base_20rocsparse_fill_mode_20rocsparse_diag_type_b, .Lfunc_end32-_ZN9rocsparseL12csrsv_kernelILj1024ELj64ELb0Ell21rocsparse_complex_numIfEEEvT3_NS_24const_host_device_scalarIT4_EEPKT2_PKS3_PKS5_SD_lPS5_PiSB_iPS3_21rocsparse_index_base_20rocsparse_fill_mode_20rocsparse_diag_type_b
                                        ; -- End function
	.set _ZN9rocsparseL12csrsv_kernelILj1024ELj64ELb0Ell21rocsparse_complex_numIfEEEvT3_NS_24const_host_device_scalarIT4_EEPKT2_PKS3_PKS5_SD_lPS5_PiSB_iPS3_21rocsparse_index_base_20rocsparse_fill_mode_20rocsparse_diag_type_b.num_vgpr, 16
	.set _ZN9rocsparseL12csrsv_kernelILj1024ELj64ELb0Ell21rocsparse_complex_numIfEEEvT3_NS_24const_host_device_scalarIT4_EEPKT2_PKS3_PKS5_SD_lPS5_PiSB_iPS3_21rocsparse_index_base_20rocsparse_fill_mode_20rocsparse_diag_type_b.num_agpr, 0
	.set _ZN9rocsparseL12csrsv_kernelILj1024ELj64ELb0Ell21rocsparse_complex_numIfEEEvT3_NS_24const_host_device_scalarIT4_EEPKT2_PKS3_PKS5_SD_lPS5_PiSB_iPS3_21rocsparse_index_base_20rocsparse_fill_mode_20rocsparse_diag_type_b.numbered_sgpr, 32
	.set _ZN9rocsparseL12csrsv_kernelILj1024ELj64ELb0Ell21rocsparse_complex_numIfEEEvT3_NS_24const_host_device_scalarIT4_EEPKT2_PKS3_PKS5_SD_lPS5_PiSB_iPS3_21rocsparse_index_base_20rocsparse_fill_mode_20rocsparse_diag_type_b.num_named_barrier, 0
	.set _ZN9rocsparseL12csrsv_kernelILj1024ELj64ELb0Ell21rocsparse_complex_numIfEEEvT3_NS_24const_host_device_scalarIT4_EEPKT2_PKS3_PKS5_SD_lPS5_PiSB_iPS3_21rocsparse_index_base_20rocsparse_fill_mode_20rocsparse_diag_type_b.private_seg_size, 0
	.set _ZN9rocsparseL12csrsv_kernelILj1024ELj64ELb0Ell21rocsparse_complex_numIfEEEvT3_NS_24const_host_device_scalarIT4_EEPKT2_PKS3_PKS5_SD_lPS5_PiSB_iPS3_21rocsparse_index_base_20rocsparse_fill_mode_20rocsparse_diag_type_b.uses_vcc, 1
	.set _ZN9rocsparseL12csrsv_kernelILj1024ELj64ELb0Ell21rocsparse_complex_numIfEEEvT3_NS_24const_host_device_scalarIT4_EEPKT2_PKS3_PKS5_SD_lPS5_PiSB_iPS3_21rocsparse_index_base_20rocsparse_fill_mode_20rocsparse_diag_type_b.uses_flat_scratch, 0
	.set _ZN9rocsparseL12csrsv_kernelILj1024ELj64ELb0Ell21rocsparse_complex_numIfEEEvT3_NS_24const_host_device_scalarIT4_EEPKT2_PKS3_PKS5_SD_lPS5_PiSB_iPS3_21rocsparse_index_base_20rocsparse_fill_mode_20rocsparse_diag_type_b.has_dyn_sized_stack, 0
	.set _ZN9rocsparseL12csrsv_kernelILj1024ELj64ELb0Ell21rocsparse_complex_numIfEEEvT3_NS_24const_host_device_scalarIT4_EEPKT2_PKS3_PKS5_SD_lPS5_PiSB_iPS3_21rocsparse_index_base_20rocsparse_fill_mode_20rocsparse_diag_type_b.has_recursion, 0
	.set _ZN9rocsparseL12csrsv_kernelILj1024ELj64ELb0Ell21rocsparse_complex_numIfEEEvT3_NS_24const_host_device_scalarIT4_EEPKT2_PKS3_PKS5_SD_lPS5_PiSB_iPS3_21rocsparse_index_base_20rocsparse_fill_mode_20rocsparse_diag_type_b.has_indirect_call, 0
	.section	.AMDGPU.csdata,"",@progbits
; Kernel info:
; codeLenInByte = 1776
; TotalNumSgprs: 34
; NumVgprs: 16
; ScratchSize: 0
; MemoryBound: 0
; FloatMode: 240
; IeeeMode: 1
; LDSByteSize: 128 bytes/workgroup (compile time only)
; SGPRBlocks: 0
; VGPRBlocks: 1
; NumSGPRsForWavesPerEU: 34
; NumVGPRsForWavesPerEU: 16
; Occupancy: 16
; WaveLimiterHint : 1
; COMPUTE_PGM_RSRC2:SCRATCH_EN: 0
; COMPUTE_PGM_RSRC2:USER_SGPR: 6
; COMPUTE_PGM_RSRC2:TRAP_HANDLER: 0
; COMPUTE_PGM_RSRC2:TGID_X_EN: 1
; COMPUTE_PGM_RSRC2:TGID_Y_EN: 0
; COMPUTE_PGM_RSRC2:TGID_Z_EN: 0
; COMPUTE_PGM_RSRC2:TIDIG_COMP_CNT: 0
	.section	.text._ZN9rocsparseL12csrsv_kernelILj1024ELj64ELb1Ell21rocsparse_complex_numIdEEEvT3_NS_24const_host_device_scalarIT4_EEPKT2_PKS3_PKS5_SD_lPS5_PiSB_iPS3_21rocsparse_index_base_20rocsparse_fill_mode_20rocsparse_diag_type_b,"axG",@progbits,_ZN9rocsparseL12csrsv_kernelILj1024ELj64ELb1Ell21rocsparse_complex_numIdEEEvT3_NS_24const_host_device_scalarIT4_EEPKT2_PKS3_PKS5_SD_lPS5_PiSB_iPS3_21rocsparse_index_base_20rocsparse_fill_mode_20rocsparse_diag_type_b,comdat
	.globl	_ZN9rocsparseL12csrsv_kernelILj1024ELj64ELb1Ell21rocsparse_complex_numIdEEEvT3_NS_24const_host_device_scalarIT4_EEPKT2_PKS3_PKS5_SD_lPS5_PiSB_iPS3_21rocsparse_index_base_20rocsparse_fill_mode_20rocsparse_diag_type_b ; -- Begin function _ZN9rocsparseL12csrsv_kernelILj1024ELj64ELb1Ell21rocsparse_complex_numIdEEEvT3_NS_24const_host_device_scalarIT4_EEPKT2_PKS3_PKS5_SD_lPS5_PiSB_iPS3_21rocsparse_index_base_20rocsparse_fill_mode_20rocsparse_diag_type_b
	.p2align	8
	.type	_ZN9rocsparseL12csrsv_kernelILj1024ELj64ELb1Ell21rocsparse_complex_numIdEEEvT3_NS_24const_host_device_scalarIT4_EEPKT2_PKS3_PKS5_SD_lPS5_PiSB_iPS3_21rocsparse_index_base_20rocsparse_fill_mode_20rocsparse_diag_type_b,@function
_ZN9rocsparseL12csrsv_kernelILj1024ELj64ELb1Ell21rocsparse_complex_numIdEEEvT3_NS_24const_host_device_scalarIT4_EEPKT2_PKS3_PKS5_SD_lPS5_PiSB_iPS3_21rocsparse_index_base_20rocsparse_fill_mode_20rocsparse_diag_type_b: ; @_ZN9rocsparseL12csrsv_kernelILj1024ELj64ELb1Ell21rocsparse_complex_numIdEEEvT3_NS_24const_host_device_scalarIT4_EEPKT2_PKS3_PKS5_SD_lPS5_PiSB_iPS3_21rocsparse_index_base_20rocsparse_fill_mode_20rocsparse_diag_type_b
; %bb.0:
	s_add_u32 s6, s6, s9
	s_addc_u32 s7, s7, 0
	s_setreg_b32 hwreg(HW_REG_FLAT_SCR_LO), s6
	s_setreg_b32 hwreg(HW_REG_FLAT_SCR_HI), s7
	s_clause 0x2
	s_load_dwordx4 s[12:15], s[4:5], 0x68
	s_load_dwordx4 s[16:19], s[4:5], 0x0
	s_load_dwordx2 s[10:11], s[4:5], 0x10
	s_add_u32 s0, s0, s9
	s_addc_u32 s1, s1, 0
	s_mov_b64 s[6:7], src_private_base
	s_waitcnt lgkmcnt(0)
	s_bitcmp1_b32 s15, 0
	v_mov_b32_e32 v3, s19
	s_cselect_b32 s6, -1, 0
	v_mov_b32_e32 v4, s18
	s_and_b32 vcc_lo, s6, exec_lo
	s_cselect_b32 s6, 0, s18
	s_cselect_b32 s7, s7, s19
	v_mov_b32_e32 v1, s6
	v_mov_b32_e32 v2, s7
	buffer_store_dword v3, off, s[0:3], 0 offset:4
	buffer_store_dword v4, off, s[0:3], 0
	v_mov_b32_e32 v8, s10
	v_mov_b32_e32 v9, s11
	flat_load_dwordx2 v[1:2], v[1:2]
	s_cbranch_vccnz .LBB33_2
; %bb.1:
	v_mov_b32_e32 v3, s18
	v_mov_b32_e32 v4, s19
	flat_load_dwordx2 v[8:9], v[3:4] offset:8
.LBB33_2:
	v_readfirstlane_b32 s6, v0
	s_lshl_b32 s7, s8, 4
	s_lshr_b32 s15, s6, 6
	s_add_i32 s6, s15, s7
	s_mov_b32 s7, 0
	v_cmp_le_i64_e64 s8, s[16:17], s[6:7]
	s_and_b32 vcc_lo, exec_lo, s8
	s_cbranch_vccnz .LBB33_49
; %bb.3:
	s_clause 0x1
	s_load_dword s8, s[4:5], 0x58
	s_load_dwordx2 s[10:11], s[4:5], 0x50
	s_lshl_b64 s[6:7], s[6:7], 3
	v_mov_b32_e32 v6, 0
	v_mov_b32_e32 v4, 0
	v_and_b32_e32 v16, 63, v0
	v_mov_b32_e32 v7, 0
	v_mov_b32_e32 v5, 0
	s_mov_b32 s20, exec_lo
	s_waitcnt lgkmcnt(0)
	s_ashr_i32 s9, s8, 31
	s_add_u32 s10, s10, s6
	s_addc_u32 s11, s11, s7
	s_lshl_b64 s[6:7], s[8:9], 3
	s_add_u32 s6, s10, s6
	s_addc_u32 s7, s11, s7
	s_load_dwordx2 s[6:7], s[6:7], 0x0
	s_load_dwordx2 s[8:9], s[4:5], 0x18
	s_waitcnt lgkmcnt(0)
	s_lshl_b64 s[10:11], s[6:7], 3
	s_add_u32 s16, s8, s10
	s_addc_u32 s17, s9, s11
	s_load_dwordx4 s[8:11], s[4:5], 0x40
	s_load_dwordx4 s[16:19], s[16:17], 0x0
	v_cmpx_eq_u32_e32 0, v16
	s_cbranch_execz .LBB33_5
; %bb.4:
	s_load_dwordx4 s[24:27], s[4:5], 0x30
	s_waitcnt lgkmcnt(0)
	s_mul_i32 s21, s6, s27
	s_mul_hi_u32 s22, s6, s26
	s_mul_i32 s23, s7, s26
	s_add_i32 s21, s22, s21
	s_mul_i32 s22, s6, s26
	s_add_i32 s23, s21, s23
	s_lshl_b64 s[22:23], s[22:23], 4
	s_add_u32 s22, s24, s22
	s_addc_u32 s23, s25, s23
	s_load_dwordx4 s[24:27], s[22:23], 0x0
	s_waitcnt vmcnt(0) lgkmcnt(0)
	v_mul_f64 v[3:4], s[26:27], -v[8:9]
	v_mul_f64 v[10:11], v[1:2], s[26:27]
	v_fma_f64 v[6:7], v[1:2], s[24:25], v[3:4]
	v_fma_f64 v[4:5], v[8:9], s[24:25], v[10:11]
.LBB33_5:
	s_or_b32 exec_lo, exec_lo, s20
	v_sub_co_u32 v0, s20, v16, s12
	s_waitcnt vmcnt(0)
	v_sub_co_ci_u32_e64 v1, null, 0, 0, s20
	v_mov_b32_e32 v17, 0
	s_waitcnt lgkmcnt(0)
	v_add_co_u32 v8, vcc_lo, s16, v0
	v_add_co_ci_u32_e64 v9, null, s17, v1, vcc_lo
	s_sub_u32 s20, s18, s12
	s_subb_u32 s21, s19, 0
	s_mov_b32 s27, 0
	s_mov_b32 s26, exec_lo
	v_cmpx_gt_i64_e64 s[20:21], v[8:9]
	s_cbranch_execz .LBB33_45
; %bb.6:
	s_clause 0x1
	s_load_dwordx2 s[22:23], s[4:5], 0x60
	s_load_dwordx4 s[16:19], s[4:5], 0x20
	s_cmp_eq_u32 s14, 0
	s_cselect_b32 s28, -1, 0
	s_add_u32 s24, s6, s12
	s_addc_u32 s25, s7, 0
	s_lshl_b32 s29, s15, 4
	s_branch .LBB33_8
.LBB33_7:                               ;   in Loop: Header=BB33_8 Depth=1
	s_or_b32 exec_lo, exec_lo, s5
	s_and_b32 s4, exec_lo, s4
	s_or_b32 s27, s4, s27
	s_andn2_b32 exec_lo, exec_lo, s27
	s_cbranch_execz .LBB33_44
.LBB33_8:                               ; =>This Loop Header: Depth=1
                                        ;     Child Loop BB33_33 Depth 2
                                        ;       Child Loop BB33_34 Depth 3
	v_lshlrev_b64 v[0:1], 4, v[8:9]
	v_lshlrev_b64 v[10:11], 3, v[8:9]
	s_waitcnt lgkmcnt(0)
	v_add_co_u32 v0, vcc_lo, s18, v0
	v_add_co_ci_u32_e64 v1, null, s19, v1, vcc_lo
	v_add_co_u32 v10, vcc_lo, s16, v10
	v_add_co_ci_u32_e64 v11, null, s17, v11, vcc_lo
	global_load_dwordx4 v[0:3], v[0:1], off slc
	global_load_dwordx2 v[10:11], v[10:11], off slc
	s_waitcnt vmcnt(1)
	v_cmp_eq_f64_e64 s4, 0, v[0:1]
	v_cmp_eq_f64_e64 s5, 0, v[2:3]
	s_waitcnt vmcnt(0)
	v_sub_co_u32 v10, vcc_lo, v10, s12
	v_subrev_co_ci_u32_e64 v11, null, 0, v11, vcc_lo
	v_cmp_eq_u64_e32 vcc_lo, s[6:7], v[10:11]
	s_and_b32 s5, s4, s5
	v_cmp_ne_u64_e64 s4, s[6:7], v[10:11]
	s_and_b32 s5, s5, vcc_lo
	s_and_b32 s5, s28, s5
	s_and_saveexec_b32 s30, s5
	s_cbranch_execz .LBB33_12
; %bb.9:                                ;   in Loop: Header=BB33_8 Depth=1
	v_mbcnt_lo_u32_b32 v0, exec_lo, 0
	s_mov_b32 s31, exec_lo
	v_cmpx_eq_u32_e32 0, v0
	s_cbranch_execz .LBB33_11
; %bb.10:                               ;   in Loop: Header=BB33_8 Depth=1
	v_mov_b32_e32 v0, s24
	v_mov_b32_e32 v1, s25
	global_atomic_umin_x2 v17, v[0:1], s[22:23]
.LBB33_11:                              ;   in Loop: Header=BB33_8 Depth=1
	s_or_b32 exec_lo, exec_lo, s31
	v_mov_b32_e32 v2, 0
	v_mov_b32_e32 v0, 0
	v_mov_b32_e32 v3, 0
	v_mov_b32_e32 v1, 0x3ff00000
.LBB33_12:                              ;   in Loop: Header=BB33_8 Depth=1
	s_or_b32 exec_lo, exec_lo, s30
	s_mov_b32 s5, -1
	s_mov_b32 s30, 0
	s_cmp_lt_i32 s13, 1
	s_mov_b32 s31, 0
	s_cbranch_scc1 .LBB33_22
; %bb.13:                               ;   in Loop: Header=BB33_8 Depth=1
	s_cmp_eq_u32 s13, 1
	s_mov_b32 s31, -1
	s_cbranch_scc0 .LBB33_21
; %bb.14:                               ;   in Loop: Header=BB33_8 Depth=1
	s_mov_b32 s31, 0
	s_mov_b32 s33, exec_lo
	v_cmpx_le_i64_e64 s[6:7], v[10:11]
	s_cbranch_execz .LBB33_20
; %bb.15:                               ;   in Loop: Header=BB33_8 Depth=1
	s_mov_b32 s31, -1
	s_and_saveexec_b32 s5, vcc_lo
	s_xor_b32 s5, exec_lo, s5
	s_cbranch_execz .LBB33_19
; %bb.16:                               ;   in Loop: Header=BB33_8 Depth=1
	s_andn2_b32 vcc_lo, exec_lo, s28
	s_cbranch_vccnz .LBB33_18
; %bb.17:                               ;   in Loop: Header=BB33_8 Depth=1
	v_mul_f64 v[12:13], v[2:3], v[2:3]
	v_fma_f64 v[12:13], v[0:1], v[0:1], v[12:13]
	v_div_scale_f64 v[14:15], null, v[12:13], v[12:13], 1.0
	v_div_scale_f64 v[22:23], vcc_lo, 1.0, v[12:13], 1.0
	v_rcp_f64_e32 v[18:19], v[14:15]
	v_fma_f64 v[20:21], -v[14:15], v[18:19], 1.0
	v_fma_f64 v[18:19], v[18:19], v[20:21], v[18:19]
	v_fma_f64 v[20:21], -v[14:15], v[18:19], 1.0
	v_fma_f64 v[18:19], v[18:19], v[20:21], v[18:19]
	v_mul_f64 v[20:21], v[22:23], v[18:19]
	v_fma_f64 v[14:15], -v[14:15], v[20:21], v[22:23]
	v_div_fmas_f64 v[14:15], v[14:15], v[18:19], v[20:21]
	v_fma_f64 v[18:19], v[2:3], 0, v[0:1]
	v_fma_f64 v[20:21], v[0:1], 0, -v[2:3]
	v_div_fixup_f64 v[14:15], v[14:15], v[12:13], 1.0
	v_mul_f64 v[12:13], v[18:19], v[14:15]
	v_mul_f64 v[14:15], v[20:21], v[14:15]
	v_mov_b32_e32 v18, s29
	ds_write_b128 v18, v[12:15]
.LBB33_18:                              ;   in Loop: Header=BB33_8 Depth=1
	s_xor_b32 s31, exec_lo, -1
.LBB33_19:                              ;   in Loop: Header=BB33_8 Depth=1
	s_or_b32 exec_lo, exec_lo, s5
	s_and_b32 s31, s31, exec_lo
.LBB33_20:                              ;   in Loop: Header=BB33_8 Depth=1
	s_or_b32 exec_lo, exec_lo, s33
.LBB33_21:                              ;   in Loop: Header=BB33_8 Depth=1
	s_mov_b32 s5, 0
.LBB33_22:                              ;   in Loop: Header=BB33_8 Depth=1
	s_and_b32 vcc_lo, exec_lo, s5
	s_mov_b32 s5, 4
	s_cbranch_vccz .LBB33_29
; %bb.23:                               ;   in Loop: Header=BB33_8 Depth=1
	s_cmp_eq_u32 s13, 0
	s_cbranch_scc1 .LBB33_25
; %bb.24:                               ;   in Loop: Header=BB33_8 Depth=1
	s_mov_b32 s31, -1
	s_branch .LBB33_28
.LBB33_25:                              ;   in Loop: Header=BB33_8 Depth=1
	s_mov_b32 s31, 0
	s_mov_b32 s5, exec_lo
	v_cmpx_ge_i64_e64 s[6:7], v[10:11]
; %bb.26:                               ;   in Loop: Header=BB33_8 Depth=1
	s_mov_b32 s30, exec_lo
	s_and_b32 s31, s4, exec_lo
; %bb.27:                               ;   in Loop: Header=BB33_8 Depth=1
	s_or_b32 exec_lo, exec_lo, s5
.LBB33_28:                              ;   in Loop: Header=BB33_8 Depth=1
	s_mov_b32 s5, 2
.LBB33_29:                              ;   in Loop: Header=BB33_8 Depth=1
	v_mov_b32_e32 v15, v5
	v_mov_b32_e32 v13, v7
	;; [unrolled: 1-line block ×5, first 2 shown]
	s_and_saveexec_b32 s4, s31
	s_cbranch_execz .LBB33_36
; %bb.30:                               ;   in Loop: Header=BB33_8 Depth=1
	v_lshlrev_b64 v[12:13], 2, v[10:11]
	s_mov_b32 s5, exec_lo
	v_add_co_u32 v12, vcc_lo, s10, v12
	v_add_co_ci_u32_e64 v13, null, s11, v13, vcc_lo
	global_load_dword v14, v[12:13], off glc dlc
	s_waitcnt vmcnt(0)
	v_cmpx_eq_u32_e32 0, v14
	s_cbranch_execz .LBB33_35
; %bb.31:                               ;   in Loop: Header=BB33_8 Depth=1
	s_mov_b32 s31, 0
	s_mov_b32 s33, 0
	s_branch .LBB33_33
	.p2align	6
.LBB33_32:                              ;   in Loop: Header=BB33_33 Depth=2
	global_load_dword v14, v[12:13], off glc dlc
	s_cmpk_lt_u32 s33, 0xf43
	s_cselect_b32 s34, -1, 0
	s_cmp_lg_u32 s34, 0
	s_addc_u32 s33, s33, 0
	s_waitcnt vmcnt(0)
	v_cmp_ne_u32_e32 vcc_lo, 0, v14
	s_or_b32 s31, vcc_lo, s31
	s_andn2_b32 exec_lo, exec_lo, s31
	s_cbranch_execz .LBB33_35
.LBB33_33:                              ;   Parent Loop BB33_8 Depth=1
                                        ; =>  This Loop Header: Depth=2
                                        ;       Child Loop BB33_34 Depth 3
	s_cmp_eq_u32 s33, 0
	s_mov_b32 s34, s33
	s_cbranch_scc1 .LBB33_32
.LBB33_34:                              ;   Parent Loop BB33_8 Depth=1
                                        ;     Parent Loop BB33_33 Depth=2
                                        ; =>    This Inner Loop Header: Depth=3
	s_add_i32 s34, s34, -1
	s_sleep 1
	s_cmp_eq_u32 s34, 0
	s_cbranch_scc0 .LBB33_34
	s_branch .LBB33_32
.LBB33_35:                              ;   in Loop: Header=BB33_8 Depth=1
	s_or_b32 exec_lo, exec_lo, s5
	v_lshlrev_b64 v[10:11], 4, v[10:11]
	s_waitcnt lgkmcnt(0)
	s_waitcnt_vscnt null, 0x0
	buffer_gl1_inv
	buffer_gl0_inv
	s_andn2_b32 s30, s30, exec_lo
	v_add_co_u32 v10, vcc_lo, s8, v10
	v_add_co_ci_u32_e64 v11, null, s9, v11, vcc_lo
	global_load_dwordx4 v[12:15], v[10:11], off
	s_waitcnt vmcnt(0)
	v_fma_f64 v[10:11], -v[0:1], v[12:13], v[6:7]
	v_fma_f64 v[18:19], -v[2:3], v[12:13], v[4:5]
	v_fma_f64 v[12:13], v[2:3], v[14:15], v[10:11]
	v_fma_f64 v[14:15], -v[0:1], v[14:15], v[18:19]
	v_mov_b32_e32 v18, 0
.LBB33_36:                              ;   in Loop: Header=BB33_8 Depth=1
	s_or_b32 exec_lo, exec_lo, s4
	s_and_saveexec_b32 s4, s30
	s_cbranch_execz .LBB33_40
; %bb.37:                               ;   in Loop: Header=BB33_8 Depth=1
	s_andn2_b32 vcc_lo, exec_lo, s28
	s_cbranch_vccnz .LBB33_39
; %bb.38:                               ;   in Loop: Header=BB33_8 Depth=1
	v_mul_f64 v[10:11], v[2:3], v[2:3]
	v_fma_f64 v[10:11], v[0:1], v[0:1], v[10:11]
	v_div_scale_f64 v[12:13], null, v[10:11], v[10:11], 1.0
	v_div_scale_f64 v[20:21], vcc_lo, 1.0, v[10:11], 1.0
	v_rcp_f64_e32 v[14:15], v[12:13]
	v_fma_f64 v[18:19], -v[12:13], v[14:15], 1.0
	v_fma_f64 v[14:15], v[14:15], v[18:19], v[14:15]
	v_fma_f64 v[18:19], -v[12:13], v[14:15], 1.0
	v_fma_f64 v[14:15], v[14:15], v[18:19], v[14:15]
	v_mul_f64 v[18:19], v[20:21], v[14:15]
	v_fma_f64 v[12:13], -v[12:13], v[18:19], v[20:21]
	v_div_fmas_f64 v[12:13], v[12:13], v[14:15], v[18:19]
	v_fma_f64 v[14:15], v[2:3], 0, v[0:1]
	v_fma_f64 v[2:3], v[0:1], 0, -v[2:3]
	v_div_fixup_f64 v[10:11], v[12:13], v[10:11], 1.0
	v_mul_f64 v[0:1], v[14:15], v[10:11]
	v_mul_f64 v[2:3], v[2:3], v[10:11]
	v_mov_b32_e32 v10, s29
	ds_write_b128 v10, v[0:3]
.LBB33_39:                              ;   in Loop: Header=BB33_8 Depth=1
	v_mov_b32_e32 v13, v7
	v_mov_b32_e32 v15, v5
	;; [unrolled: 1-line block ×5, first 2 shown]
.LBB33_40:                              ;   in Loop: Header=BB33_8 Depth=1
	s_or_b32 exec_lo, exec_lo, s4
	v_mov_b32_e32 v4, v14
	v_mov_b32_e32 v6, v12
	;; [unrolled: 1-line block ×4, first 2 shown]
	s_mov_b32 s4, -1
	s_mov_b32 s30, -1
	s_mov_b32 s5, exec_lo
	v_cmpx_gt_i32_e32 4, v18
; %bb.41:                               ;   in Loop: Header=BB33_8 Depth=1
	v_cmp_eq_u32_e32 vcc_lo, 0, v18
	s_orn2_b32 s30, vcc_lo, exec_lo
; %bb.42:                               ;   in Loop: Header=BB33_8 Depth=1
	s_or_b32 exec_lo, exec_lo, s5
	s_and_saveexec_b32 s5, s30
	s_cbranch_execz .LBB33_7
; %bb.43:                               ;   in Loop: Header=BB33_8 Depth=1
	v_add_co_u32 v8, vcc_lo, v8, 64
	v_add_co_ci_u32_e64 v9, null, 0, v9, vcc_lo
	v_cmp_le_i64_e32 vcc_lo, s[20:21], v[8:9]
	s_orn2_b32 s4, vcc_lo, exec_lo
	s_branch .LBB33_7
.LBB33_44:
	s_or_b32 exec_lo, exec_lo, s27
.LBB33_45:
	s_or_b32 exec_lo, exec_lo, s26
	v_mbcnt_lo_u32_b32 v8, -1, 0
	s_cmp_lg_u32 s14, 0
	v_or_b32_e32 v0, 32, v8
	v_cmp_gt_i32_e32 vcc_lo, 32, v0
	v_cndmask_b32_e32 v0, v8, v0, vcc_lo
	v_lshlrev_b32_e32 v3, 2, v0
	ds_bpermute_b32 v0, v3, v6
	ds_bpermute_b32 v1, v3, v7
	;; [unrolled: 1-line block ×4, first 2 shown]
	s_waitcnt lgkmcnt(2)
	v_add_f64 v[0:1], v[6:7], v[0:1]
	s_waitcnt lgkmcnt(0)
	v_add_f64 v[2:3], v[4:5], v[2:3]
	v_xor_b32_e32 v4, 16, v8
	v_cmp_gt_i32_e32 vcc_lo, 32, v4
	v_cndmask_b32_e32 v4, v8, v4, vcc_lo
	v_lshlrev_b32_e32 v7, 2, v4
	ds_bpermute_b32 v4, v7, v0
	ds_bpermute_b32 v5, v7, v1
	ds_bpermute_b32 v6, v7, v2
	ds_bpermute_b32 v7, v7, v3
	s_waitcnt lgkmcnt(2)
	v_add_f64 v[0:1], v[0:1], v[4:5]
	v_xor_b32_e32 v4, 8, v8
	s_waitcnt lgkmcnt(0)
	v_add_f64 v[2:3], v[2:3], v[6:7]
	v_cmp_gt_i32_e32 vcc_lo, 32, v4
	v_cndmask_b32_e32 v4, v8, v4, vcc_lo
	v_lshlrev_b32_e32 v7, 2, v4
	ds_bpermute_b32 v4, v7, v0
	ds_bpermute_b32 v5, v7, v1
	ds_bpermute_b32 v6, v7, v2
	ds_bpermute_b32 v7, v7, v3
	s_waitcnt lgkmcnt(2)
	v_add_f64 v[0:1], v[0:1], v[4:5]
	v_xor_b32_e32 v4, 4, v8
	s_waitcnt lgkmcnt(0)
	v_add_f64 v[2:3], v[2:3], v[6:7]
	;; [unrolled: 12-line block ×4, first 2 shown]
	v_cmp_gt_i32_e32 vcc_lo, 32, v4
	v_cndmask_b32_e32 v4, v8, v4, vcc_lo
	v_lshlrev_b32_e32 v7, 2, v4
	ds_bpermute_b32 v4, v7, v0
	ds_bpermute_b32 v5, v7, v1
	;; [unrolled: 1-line block ×4, first 2 shown]
	s_waitcnt lgkmcnt(2)
	v_add_f64 v[0:1], v[0:1], v[4:5]
	s_waitcnt lgkmcnt(0)
	v_add_f64 v[2:3], v[2:3], v[6:7]
	s_cbranch_scc1 .LBB33_47
; %bb.46:
	s_lshl_b32 s4, s15, 4
	s_waitcnt_vscnt null, 0x0
	buffer_gl0_inv
	v_mov_b32_e32 v4, s4
	ds_read_b128 v[4:7], v4
	s_waitcnt lgkmcnt(0)
	v_mul_f64 v[8:9], v[6:7], -v[2:3]
	v_mul_f64 v[6:7], v[0:1], v[6:7]
	v_fma_f64 v[0:1], v[0:1], v[4:5], v[8:9]
	v_fma_f64 v[2:3], v[2:3], v[4:5], v[6:7]
.LBB33_47:
	s_mov_b32 s4, exec_lo
	v_cmpx_eq_u32_e32 63, v16
	s_cbranch_execz .LBB33_49
; %bb.48:
	s_lshl_b64 s[4:5], s[6:7], 4
	v_mov_b32_e32 v4, 0
	s_add_u32 s4, s8, s4
	s_addc_u32 s5, s9, s5
	s_lshl_b64 s[6:7], s[6:7], 2
	v_mov_b32_e32 v5, 1
	s_add_u32 s6, s10, s6
	s_addc_u32 s7, s11, s7
	global_store_dwordx4 v4, v[0:3], s[4:5] glc slc
	s_waitcnt_vscnt null, 0x0
	global_store_dword v4, v5, s[6:7]
.LBB33_49:
	s_endpgm
	.section	.rodata,"a",@progbits
	.p2align	6, 0x0
	.amdhsa_kernel _ZN9rocsparseL12csrsv_kernelILj1024ELj64ELb1Ell21rocsparse_complex_numIdEEEvT3_NS_24const_host_device_scalarIT4_EEPKT2_PKS3_PKS5_SD_lPS5_PiSB_iPS3_21rocsparse_index_base_20rocsparse_fill_mode_20rocsparse_diag_type_b
		.amdhsa_group_segment_fixed_size 256
		.amdhsa_private_segment_fixed_size 16
		.amdhsa_kernarg_size 120
		.amdhsa_user_sgpr_count 8
		.amdhsa_user_sgpr_private_segment_buffer 1
		.amdhsa_user_sgpr_dispatch_ptr 0
		.amdhsa_user_sgpr_queue_ptr 0
		.amdhsa_user_sgpr_kernarg_segment_ptr 1
		.amdhsa_user_sgpr_dispatch_id 0
		.amdhsa_user_sgpr_flat_scratch_init 1
		.amdhsa_user_sgpr_private_segment_size 0
		.amdhsa_wavefront_size32 1
		.amdhsa_uses_dynamic_stack 0
		.amdhsa_system_sgpr_private_segment_wavefront_offset 1
		.amdhsa_system_sgpr_workgroup_id_x 1
		.amdhsa_system_sgpr_workgroup_id_y 0
		.amdhsa_system_sgpr_workgroup_id_z 0
		.amdhsa_system_sgpr_workgroup_info 0
		.amdhsa_system_vgpr_workitem_id 0
		.amdhsa_next_free_vgpr 24
		.amdhsa_next_free_sgpr 35
		.amdhsa_reserve_vcc 1
		.amdhsa_reserve_flat_scratch 1
		.amdhsa_float_round_mode_32 0
		.amdhsa_float_round_mode_16_64 0
		.amdhsa_float_denorm_mode_32 3
		.amdhsa_float_denorm_mode_16_64 3
		.amdhsa_dx10_clamp 1
		.amdhsa_ieee_mode 1
		.amdhsa_fp16_overflow 0
		.amdhsa_workgroup_processor_mode 1
		.amdhsa_memory_ordered 1
		.amdhsa_forward_progress 1
		.amdhsa_shared_vgpr_count 0
		.amdhsa_exception_fp_ieee_invalid_op 0
		.amdhsa_exception_fp_denorm_src 0
		.amdhsa_exception_fp_ieee_div_zero 0
		.amdhsa_exception_fp_ieee_overflow 0
		.amdhsa_exception_fp_ieee_underflow 0
		.amdhsa_exception_fp_ieee_inexact 0
		.amdhsa_exception_int_div_zero 0
	.end_amdhsa_kernel
	.section	.text._ZN9rocsparseL12csrsv_kernelILj1024ELj64ELb1Ell21rocsparse_complex_numIdEEEvT3_NS_24const_host_device_scalarIT4_EEPKT2_PKS3_PKS5_SD_lPS5_PiSB_iPS3_21rocsparse_index_base_20rocsparse_fill_mode_20rocsparse_diag_type_b,"axG",@progbits,_ZN9rocsparseL12csrsv_kernelILj1024ELj64ELb1Ell21rocsparse_complex_numIdEEEvT3_NS_24const_host_device_scalarIT4_EEPKT2_PKS3_PKS5_SD_lPS5_PiSB_iPS3_21rocsparse_index_base_20rocsparse_fill_mode_20rocsparse_diag_type_b,comdat
.Lfunc_end33:
	.size	_ZN9rocsparseL12csrsv_kernelILj1024ELj64ELb1Ell21rocsparse_complex_numIdEEEvT3_NS_24const_host_device_scalarIT4_EEPKT2_PKS3_PKS5_SD_lPS5_PiSB_iPS3_21rocsparse_index_base_20rocsparse_fill_mode_20rocsparse_diag_type_b, .Lfunc_end33-_ZN9rocsparseL12csrsv_kernelILj1024ELj64ELb1Ell21rocsparse_complex_numIdEEEvT3_NS_24const_host_device_scalarIT4_EEPKT2_PKS3_PKS5_SD_lPS5_PiSB_iPS3_21rocsparse_index_base_20rocsparse_fill_mode_20rocsparse_diag_type_b
                                        ; -- End function
	.set _ZN9rocsparseL12csrsv_kernelILj1024ELj64ELb1Ell21rocsparse_complex_numIdEEEvT3_NS_24const_host_device_scalarIT4_EEPKT2_PKS3_PKS5_SD_lPS5_PiSB_iPS3_21rocsparse_index_base_20rocsparse_fill_mode_20rocsparse_diag_type_b.num_vgpr, 24
	.set _ZN9rocsparseL12csrsv_kernelILj1024ELj64ELb1Ell21rocsparse_complex_numIdEEEvT3_NS_24const_host_device_scalarIT4_EEPKT2_PKS3_PKS5_SD_lPS5_PiSB_iPS3_21rocsparse_index_base_20rocsparse_fill_mode_20rocsparse_diag_type_b.num_agpr, 0
	.set _ZN9rocsparseL12csrsv_kernelILj1024ELj64ELb1Ell21rocsparse_complex_numIdEEEvT3_NS_24const_host_device_scalarIT4_EEPKT2_PKS3_PKS5_SD_lPS5_PiSB_iPS3_21rocsparse_index_base_20rocsparse_fill_mode_20rocsparse_diag_type_b.numbered_sgpr, 35
	.set _ZN9rocsparseL12csrsv_kernelILj1024ELj64ELb1Ell21rocsparse_complex_numIdEEEvT3_NS_24const_host_device_scalarIT4_EEPKT2_PKS3_PKS5_SD_lPS5_PiSB_iPS3_21rocsparse_index_base_20rocsparse_fill_mode_20rocsparse_diag_type_b.num_named_barrier, 0
	.set _ZN9rocsparseL12csrsv_kernelILj1024ELj64ELb1Ell21rocsparse_complex_numIdEEEvT3_NS_24const_host_device_scalarIT4_EEPKT2_PKS3_PKS5_SD_lPS5_PiSB_iPS3_21rocsparse_index_base_20rocsparse_fill_mode_20rocsparse_diag_type_b.private_seg_size, 16
	.set _ZN9rocsparseL12csrsv_kernelILj1024ELj64ELb1Ell21rocsparse_complex_numIdEEEvT3_NS_24const_host_device_scalarIT4_EEPKT2_PKS3_PKS5_SD_lPS5_PiSB_iPS3_21rocsparse_index_base_20rocsparse_fill_mode_20rocsparse_diag_type_b.uses_vcc, 1
	.set _ZN9rocsparseL12csrsv_kernelILj1024ELj64ELb1Ell21rocsparse_complex_numIdEEEvT3_NS_24const_host_device_scalarIT4_EEPKT2_PKS3_PKS5_SD_lPS5_PiSB_iPS3_21rocsparse_index_base_20rocsparse_fill_mode_20rocsparse_diag_type_b.uses_flat_scratch, 1
	.set _ZN9rocsparseL12csrsv_kernelILj1024ELj64ELb1Ell21rocsparse_complex_numIdEEEvT3_NS_24const_host_device_scalarIT4_EEPKT2_PKS3_PKS5_SD_lPS5_PiSB_iPS3_21rocsparse_index_base_20rocsparse_fill_mode_20rocsparse_diag_type_b.has_dyn_sized_stack, 0
	.set _ZN9rocsparseL12csrsv_kernelILj1024ELj64ELb1Ell21rocsparse_complex_numIdEEEvT3_NS_24const_host_device_scalarIT4_EEPKT2_PKS3_PKS5_SD_lPS5_PiSB_iPS3_21rocsparse_index_base_20rocsparse_fill_mode_20rocsparse_diag_type_b.has_recursion, 0
	.set _ZN9rocsparseL12csrsv_kernelILj1024ELj64ELb1Ell21rocsparse_complex_numIdEEEvT3_NS_24const_host_device_scalarIT4_EEPKT2_PKS3_PKS5_SD_lPS5_PiSB_iPS3_21rocsparse_index_base_20rocsparse_fill_mode_20rocsparse_diag_type_b.has_indirect_call, 0
	.section	.AMDGPU.csdata,"",@progbits
; Kernel info:
; codeLenInByte = 2188
; TotalNumSgprs: 37
; NumVgprs: 24
; ScratchSize: 16
; MemoryBound: 0
; FloatMode: 240
; IeeeMode: 1
; LDSByteSize: 256 bytes/workgroup (compile time only)
; SGPRBlocks: 0
; VGPRBlocks: 2
; NumSGPRsForWavesPerEU: 37
; NumVGPRsForWavesPerEU: 24
; Occupancy: 16
; WaveLimiterHint : 1
; COMPUTE_PGM_RSRC2:SCRATCH_EN: 1
; COMPUTE_PGM_RSRC2:USER_SGPR: 8
; COMPUTE_PGM_RSRC2:TRAP_HANDLER: 0
; COMPUTE_PGM_RSRC2:TGID_X_EN: 1
; COMPUTE_PGM_RSRC2:TGID_Y_EN: 0
; COMPUTE_PGM_RSRC2:TGID_Z_EN: 0
; COMPUTE_PGM_RSRC2:TIDIG_COMP_CNT: 0
	.section	.text._ZN9rocsparseL12csrsv_kernelILj1024ELj32ELb0Ell21rocsparse_complex_numIdEEEvT3_NS_24const_host_device_scalarIT4_EEPKT2_PKS3_PKS5_SD_lPS5_PiSB_iPS3_21rocsparse_index_base_20rocsparse_fill_mode_20rocsparse_diag_type_b,"axG",@progbits,_ZN9rocsparseL12csrsv_kernelILj1024ELj32ELb0Ell21rocsparse_complex_numIdEEEvT3_NS_24const_host_device_scalarIT4_EEPKT2_PKS3_PKS5_SD_lPS5_PiSB_iPS3_21rocsparse_index_base_20rocsparse_fill_mode_20rocsparse_diag_type_b,comdat
	.globl	_ZN9rocsparseL12csrsv_kernelILj1024ELj32ELb0Ell21rocsparse_complex_numIdEEEvT3_NS_24const_host_device_scalarIT4_EEPKT2_PKS3_PKS5_SD_lPS5_PiSB_iPS3_21rocsparse_index_base_20rocsparse_fill_mode_20rocsparse_diag_type_b ; -- Begin function _ZN9rocsparseL12csrsv_kernelILj1024ELj32ELb0Ell21rocsparse_complex_numIdEEEvT3_NS_24const_host_device_scalarIT4_EEPKT2_PKS3_PKS5_SD_lPS5_PiSB_iPS3_21rocsparse_index_base_20rocsparse_fill_mode_20rocsparse_diag_type_b
	.p2align	8
	.type	_ZN9rocsparseL12csrsv_kernelILj1024ELj32ELb0Ell21rocsparse_complex_numIdEEEvT3_NS_24const_host_device_scalarIT4_EEPKT2_PKS3_PKS5_SD_lPS5_PiSB_iPS3_21rocsparse_index_base_20rocsparse_fill_mode_20rocsparse_diag_type_b,@function
_ZN9rocsparseL12csrsv_kernelILj1024ELj32ELb0Ell21rocsparse_complex_numIdEEEvT3_NS_24const_host_device_scalarIT4_EEPKT2_PKS3_PKS5_SD_lPS5_PiSB_iPS3_21rocsparse_index_base_20rocsparse_fill_mode_20rocsparse_diag_type_b: ; @_ZN9rocsparseL12csrsv_kernelILj1024ELj32ELb0Ell21rocsparse_complex_numIdEEEvT3_NS_24const_host_device_scalarIT4_EEPKT2_PKS3_PKS5_SD_lPS5_PiSB_iPS3_21rocsparse_index_base_20rocsparse_fill_mode_20rocsparse_diag_type_b
; %bb.0:
	s_add_u32 s6, s6, s9
	s_addc_u32 s7, s7, 0
	s_setreg_b32 hwreg(HW_REG_FLAT_SCR_LO), s6
	s_setreg_b32 hwreg(HW_REG_FLAT_SCR_HI), s7
	s_clause 0x2
	s_load_dwordx4 s[12:15], s[4:5], 0x68
	s_load_dwordx4 s[16:19], s[4:5], 0x0
	s_load_dwordx2 s[10:11], s[4:5], 0x10
	s_add_u32 s0, s0, s9
	s_addc_u32 s1, s1, 0
	s_mov_b64 s[6:7], src_private_base
	s_waitcnt lgkmcnt(0)
	s_bitcmp1_b32 s15, 0
	v_mov_b32_e32 v3, s19
	s_cselect_b32 s6, -1, 0
	v_mov_b32_e32 v4, s18
	s_and_b32 vcc_lo, s6, exec_lo
	s_cselect_b32 s6, 0, s18
	s_cselect_b32 s7, s7, s19
	v_mov_b32_e32 v1, s6
	v_mov_b32_e32 v2, s7
	buffer_store_dword v3, off, s[0:3], 0 offset:4
	buffer_store_dword v4, off, s[0:3], 0
	v_mov_b32_e32 v8, s10
	v_mov_b32_e32 v9, s11
	flat_load_dwordx2 v[1:2], v[1:2]
	s_cbranch_vccnz .LBB34_2
; %bb.1:
	v_mov_b32_e32 v3, s18
	v_mov_b32_e32 v4, s19
	flat_load_dwordx2 v[8:9], v[3:4] offset:8
.LBB34_2:
	v_readfirstlane_b32 s6, v0
	s_lshl_b32 s7, s8, 5
	s_lshr_b32 s15, s6, 5
	s_add_i32 s6, s15, s7
	s_mov_b32 s7, 0
	v_cmp_le_i64_e64 s8, s[16:17], s[6:7]
	s_and_b32 vcc_lo, exec_lo, s8
	s_cbranch_vccnz .LBB34_47
; %bb.3:
	s_clause 0x1
	s_load_dword s8, s[4:5], 0x58
	s_load_dwordx2 s[10:11], s[4:5], 0x50
	s_lshl_b64 s[6:7], s[6:7], 3
	v_mov_b32_e32 v6, 0
	v_mov_b32_e32 v4, 0
	v_and_b32_e32 v16, 31, v0
	v_mov_b32_e32 v7, 0
	v_mov_b32_e32 v5, 0
	s_mov_b32 s20, exec_lo
	s_waitcnt lgkmcnt(0)
	s_ashr_i32 s9, s8, 31
	s_add_u32 s10, s10, s6
	s_addc_u32 s11, s11, s7
	s_lshl_b64 s[6:7], s[8:9], 3
	s_add_u32 s6, s10, s6
	s_addc_u32 s7, s11, s7
	s_load_dwordx2 s[6:7], s[6:7], 0x0
	s_load_dwordx2 s[8:9], s[4:5], 0x18
	s_waitcnt lgkmcnt(0)
	s_lshl_b64 s[10:11], s[6:7], 3
	s_add_u32 s16, s8, s10
	s_addc_u32 s17, s9, s11
	s_load_dwordx4 s[8:11], s[4:5], 0x40
	s_load_dwordx4 s[16:19], s[16:17], 0x0
	v_cmpx_eq_u32_e32 0, v16
	s_cbranch_execz .LBB34_5
; %bb.4:
	s_load_dwordx4 s[24:27], s[4:5], 0x30
	s_waitcnt lgkmcnt(0)
	s_mul_i32 s21, s6, s27
	s_mul_hi_u32 s22, s6, s26
	s_mul_i32 s23, s7, s26
	s_add_i32 s21, s22, s21
	s_mul_i32 s22, s6, s26
	s_add_i32 s23, s21, s23
	s_lshl_b64 s[22:23], s[22:23], 4
	s_add_u32 s22, s24, s22
	s_addc_u32 s23, s25, s23
	s_load_dwordx4 s[24:27], s[22:23], 0x0
	s_waitcnt vmcnt(0) lgkmcnt(0)
	v_mul_f64 v[3:4], s[26:27], -v[8:9]
	v_mul_f64 v[10:11], v[1:2], s[26:27]
	v_fma_f64 v[6:7], v[1:2], s[24:25], v[3:4]
	v_fma_f64 v[4:5], v[8:9], s[24:25], v[10:11]
.LBB34_5:
	s_or_b32 exec_lo, exec_lo, s20
	v_sub_co_u32 v0, s20, v16, s12
	s_waitcnt vmcnt(0)
	v_sub_co_ci_u32_e64 v1, null, 0, 0, s20
	v_mov_b32_e32 v17, 0
	s_waitcnt lgkmcnt(0)
	v_add_co_u32 v8, vcc_lo, s16, v0
	v_add_co_ci_u32_e64 v9, null, s17, v1, vcc_lo
	s_sub_u32 s20, s18, s12
	s_subb_u32 s21, s19, 0
	s_mov_b32 s27, 0
	s_mov_b32 s26, exec_lo
	v_cmpx_gt_i64_e64 s[20:21], v[8:9]
	s_cbranch_execz .LBB34_43
; %bb.6:
	s_clause 0x1
	s_load_dwordx2 s[22:23], s[4:5], 0x60
	s_load_dwordx4 s[16:19], s[4:5], 0x20
	s_cmp_eq_u32 s14, 0
	s_cselect_b32 s28, -1, 0
	s_add_u32 s24, s6, s12
	s_addc_u32 s25, s7, 0
	s_lshl_b32 s29, s15, 4
	s_branch .LBB34_8
.LBB34_7:                               ;   in Loop: Header=BB34_8 Depth=1
	s_or_b32 exec_lo, exec_lo, s5
	s_and_b32 s4, exec_lo, s4
	s_or_b32 s27, s4, s27
	s_andn2_b32 exec_lo, exec_lo, s27
	s_cbranch_execz .LBB34_42
.LBB34_8:                               ; =>This Loop Header: Depth=1
                                        ;     Child Loop BB34_32 Depth 2
	v_lshlrev_b64 v[0:1], 4, v[8:9]
	v_lshlrev_b64 v[10:11], 3, v[8:9]
	s_waitcnt lgkmcnt(0)
	v_add_co_u32 v0, vcc_lo, s18, v0
	v_add_co_ci_u32_e64 v1, null, s19, v1, vcc_lo
	v_add_co_u32 v10, vcc_lo, s16, v10
	v_add_co_ci_u32_e64 v11, null, s17, v11, vcc_lo
	global_load_dwordx4 v[0:3], v[0:1], off slc
	global_load_dwordx2 v[10:11], v[10:11], off slc
	s_waitcnt vmcnt(1)
	v_cmp_eq_f64_e64 s4, 0, v[0:1]
	v_cmp_eq_f64_e64 s5, 0, v[2:3]
	s_waitcnt vmcnt(0)
	v_sub_co_u32 v10, vcc_lo, v10, s12
	v_subrev_co_ci_u32_e64 v11, null, 0, v11, vcc_lo
	v_cmp_eq_u64_e32 vcc_lo, s[6:7], v[10:11]
	s_and_b32 s5, s4, s5
	v_cmp_ne_u64_e64 s4, s[6:7], v[10:11]
	s_and_b32 s5, s5, vcc_lo
	s_and_b32 s5, s28, s5
	s_and_saveexec_b32 s30, s5
	s_cbranch_execz .LBB34_12
; %bb.9:                                ;   in Loop: Header=BB34_8 Depth=1
	v_mbcnt_lo_u32_b32 v0, exec_lo, 0
	s_mov_b32 s31, exec_lo
	v_cmpx_eq_u32_e32 0, v0
	s_cbranch_execz .LBB34_11
; %bb.10:                               ;   in Loop: Header=BB34_8 Depth=1
	v_mov_b32_e32 v0, s24
	v_mov_b32_e32 v1, s25
	global_atomic_umin_x2 v17, v[0:1], s[22:23]
.LBB34_11:                              ;   in Loop: Header=BB34_8 Depth=1
	s_or_b32 exec_lo, exec_lo, s31
	v_mov_b32_e32 v2, 0
	v_mov_b32_e32 v0, 0
	v_mov_b32_e32 v3, 0
	v_mov_b32_e32 v1, 0x3ff00000
.LBB34_12:                              ;   in Loop: Header=BB34_8 Depth=1
	s_or_b32 exec_lo, exec_lo, s30
	s_mov_b32 s5, -1
	s_mov_b32 s30, 0
	s_cmp_lt_i32 s13, 1
	s_mov_b32 s31, 0
	s_cbranch_scc1 .LBB34_22
; %bb.13:                               ;   in Loop: Header=BB34_8 Depth=1
	s_cmp_eq_u32 s13, 1
	s_mov_b32 s31, -1
	s_cbranch_scc0 .LBB34_21
; %bb.14:                               ;   in Loop: Header=BB34_8 Depth=1
	s_mov_b32 s31, 0
	s_mov_b32 s33, exec_lo
	v_cmpx_le_i64_e64 s[6:7], v[10:11]
	s_cbranch_execz .LBB34_20
; %bb.15:                               ;   in Loop: Header=BB34_8 Depth=1
	s_mov_b32 s31, -1
	s_and_saveexec_b32 s5, vcc_lo
	s_xor_b32 s5, exec_lo, s5
	s_cbranch_execz .LBB34_19
; %bb.16:                               ;   in Loop: Header=BB34_8 Depth=1
	s_andn2_b32 vcc_lo, exec_lo, s28
	s_cbranch_vccnz .LBB34_18
; %bb.17:                               ;   in Loop: Header=BB34_8 Depth=1
	v_mul_f64 v[12:13], v[2:3], v[2:3]
	v_fma_f64 v[12:13], v[0:1], v[0:1], v[12:13]
	v_div_scale_f64 v[14:15], null, v[12:13], v[12:13], 1.0
	v_div_scale_f64 v[22:23], vcc_lo, 1.0, v[12:13], 1.0
	v_rcp_f64_e32 v[18:19], v[14:15]
	v_fma_f64 v[20:21], -v[14:15], v[18:19], 1.0
	v_fma_f64 v[18:19], v[18:19], v[20:21], v[18:19]
	v_fma_f64 v[20:21], -v[14:15], v[18:19], 1.0
	v_fma_f64 v[18:19], v[18:19], v[20:21], v[18:19]
	v_mul_f64 v[20:21], v[22:23], v[18:19]
	v_fma_f64 v[14:15], -v[14:15], v[20:21], v[22:23]
	v_div_fmas_f64 v[14:15], v[14:15], v[18:19], v[20:21]
	v_fma_f64 v[18:19], v[2:3], 0, v[0:1]
	v_fma_f64 v[20:21], v[0:1], 0, -v[2:3]
	v_div_fixup_f64 v[14:15], v[14:15], v[12:13], 1.0
	v_mul_f64 v[12:13], v[18:19], v[14:15]
	v_mul_f64 v[14:15], v[20:21], v[14:15]
	v_mov_b32_e32 v18, s29
	ds_write_b128 v18, v[12:15]
.LBB34_18:                              ;   in Loop: Header=BB34_8 Depth=1
	s_xor_b32 s31, exec_lo, -1
.LBB34_19:                              ;   in Loop: Header=BB34_8 Depth=1
	s_or_b32 exec_lo, exec_lo, s5
	s_and_b32 s31, s31, exec_lo
.LBB34_20:                              ;   in Loop: Header=BB34_8 Depth=1
	s_or_b32 exec_lo, exec_lo, s33
.LBB34_21:                              ;   in Loop: Header=BB34_8 Depth=1
	s_mov_b32 s5, 0
.LBB34_22:                              ;   in Loop: Header=BB34_8 Depth=1
	s_and_b32 vcc_lo, exec_lo, s5
	s_mov_b32 s5, 4
	s_cbranch_vccz .LBB34_29
; %bb.23:                               ;   in Loop: Header=BB34_8 Depth=1
	s_cmp_eq_u32 s13, 0
	s_cbranch_scc1 .LBB34_25
; %bb.24:                               ;   in Loop: Header=BB34_8 Depth=1
	s_mov_b32 s31, -1
	s_branch .LBB34_28
.LBB34_25:                              ;   in Loop: Header=BB34_8 Depth=1
	s_mov_b32 s31, 0
	s_mov_b32 s5, exec_lo
	v_cmpx_ge_i64_e64 s[6:7], v[10:11]
; %bb.26:                               ;   in Loop: Header=BB34_8 Depth=1
	s_mov_b32 s30, exec_lo
	s_and_b32 s31, s4, exec_lo
; %bb.27:                               ;   in Loop: Header=BB34_8 Depth=1
	s_or_b32 exec_lo, exec_lo, s5
.LBB34_28:                              ;   in Loop: Header=BB34_8 Depth=1
	s_mov_b32 s5, 2
.LBB34_29:                              ;   in Loop: Header=BB34_8 Depth=1
	v_mov_b32_e32 v15, v5
	v_mov_b32_e32 v13, v7
	;; [unrolled: 1-line block ×5, first 2 shown]
	s_and_saveexec_b32 s4, s31
	s_cbranch_execz .LBB34_34
; %bb.30:                               ;   in Loop: Header=BB34_8 Depth=1
	v_lshlrev_b64 v[12:13], 2, v[10:11]
	s_mov_b32 s5, exec_lo
	v_add_co_u32 v12, vcc_lo, s10, v12
	v_add_co_ci_u32_e64 v13, null, s11, v13, vcc_lo
	global_load_dword v14, v[12:13], off glc dlc
	s_waitcnt vmcnt(0)
	v_cmpx_eq_u32_e32 0, v14
	s_cbranch_execz .LBB34_33
; %bb.31:                               ;   in Loop: Header=BB34_8 Depth=1
	s_mov_b32 s31, 0
.LBB34_32:                              ;   Parent Loop BB34_8 Depth=1
                                        ; =>  This Inner Loop Header: Depth=2
	global_load_dword v14, v[12:13], off glc dlc
	s_waitcnt vmcnt(0)
	v_cmp_ne_u32_e32 vcc_lo, 0, v14
	s_or_b32 s31, vcc_lo, s31
	s_andn2_b32 exec_lo, exec_lo, s31
	s_cbranch_execnz .LBB34_32
.LBB34_33:                              ;   in Loop: Header=BB34_8 Depth=1
	s_or_b32 exec_lo, exec_lo, s5
	v_lshlrev_b64 v[10:11], 4, v[10:11]
	s_waitcnt lgkmcnt(0)
	s_waitcnt_vscnt null, 0x0
	buffer_gl1_inv
	buffer_gl0_inv
	s_andn2_b32 s30, s30, exec_lo
	v_add_co_u32 v10, vcc_lo, s8, v10
	v_add_co_ci_u32_e64 v11, null, s9, v11, vcc_lo
	global_load_dwordx4 v[12:15], v[10:11], off
	s_waitcnt vmcnt(0)
	v_fma_f64 v[10:11], -v[0:1], v[12:13], v[6:7]
	v_fma_f64 v[18:19], -v[2:3], v[12:13], v[4:5]
	v_fma_f64 v[12:13], v[2:3], v[14:15], v[10:11]
	v_fma_f64 v[14:15], -v[0:1], v[14:15], v[18:19]
	v_mov_b32_e32 v18, 0
.LBB34_34:                              ;   in Loop: Header=BB34_8 Depth=1
	s_or_b32 exec_lo, exec_lo, s4
	s_and_saveexec_b32 s4, s30
	s_cbranch_execz .LBB34_38
; %bb.35:                               ;   in Loop: Header=BB34_8 Depth=1
	s_andn2_b32 vcc_lo, exec_lo, s28
	s_cbranch_vccnz .LBB34_37
; %bb.36:                               ;   in Loop: Header=BB34_8 Depth=1
	v_mul_f64 v[10:11], v[2:3], v[2:3]
	v_fma_f64 v[10:11], v[0:1], v[0:1], v[10:11]
	v_div_scale_f64 v[12:13], null, v[10:11], v[10:11], 1.0
	v_div_scale_f64 v[20:21], vcc_lo, 1.0, v[10:11], 1.0
	v_rcp_f64_e32 v[14:15], v[12:13]
	v_fma_f64 v[18:19], -v[12:13], v[14:15], 1.0
	v_fma_f64 v[14:15], v[14:15], v[18:19], v[14:15]
	v_fma_f64 v[18:19], -v[12:13], v[14:15], 1.0
	v_fma_f64 v[14:15], v[14:15], v[18:19], v[14:15]
	v_mul_f64 v[18:19], v[20:21], v[14:15]
	v_fma_f64 v[12:13], -v[12:13], v[18:19], v[20:21]
	v_div_fmas_f64 v[12:13], v[12:13], v[14:15], v[18:19]
	v_fma_f64 v[14:15], v[2:3], 0, v[0:1]
	v_fma_f64 v[2:3], v[0:1], 0, -v[2:3]
	v_div_fixup_f64 v[10:11], v[12:13], v[10:11], 1.0
	v_mul_f64 v[0:1], v[14:15], v[10:11]
	v_mul_f64 v[2:3], v[2:3], v[10:11]
	v_mov_b32_e32 v10, s29
	ds_write_b128 v10, v[0:3]
.LBB34_37:                              ;   in Loop: Header=BB34_8 Depth=1
	v_mov_b32_e32 v13, v7
	v_mov_b32_e32 v15, v5
	;; [unrolled: 1-line block ×5, first 2 shown]
.LBB34_38:                              ;   in Loop: Header=BB34_8 Depth=1
	s_or_b32 exec_lo, exec_lo, s4
	v_mov_b32_e32 v4, v14
	v_mov_b32_e32 v6, v12
	;; [unrolled: 1-line block ×4, first 2 shown]
	s_mov_b32 s4, -1
	s_mov_b32 s30, -1
	s_mov_b32 s5, exec_lo
	v_cmpx_gt_i32_e32 4, v18
; %bb.39:                               ;   in Loop: Header=BB34_8 Depth=1
	v_cmp_eq_u32_e32 vcc_lo, 0, v18
	s_orn2_b32 s30, vcc_lo, exec_lo
; %bb.40:                               ;   in Loop: Header=BB34_8 Depth=1
	s_or_b32 exec_lo, exec_lo, s5
	s_and_saveexec_b32 s5, s30
	s_cbranch_execz .LBB34_7
; %bb.41:                               ;   in Loop: Header=BB34_8 Depth=1
	v_add_co_u32 v8, vcc_lo, v8, 32
	v_add_co_ci_u32_e64 v9, null, 0, v9, vcc_lo
	v_cmp_le_i64_e32 vcc_lo, s[20:21], v[8:9]
	s_orn2_b32 s4, vcc_lo, exec_lo
	s_branch .LBB34_7
.LBB34_42:
	s_or_b32 exec_lo, exec_lo, s27
.LBB34_43:
	s_or_b32 exec_lo, exec_lo, s26
	v_mbcnt_lo_u32_b32 v8, -1, 0
	s_cmp_lg_u32 s14, 0
	v_xor_b32_e32 v0, 16, v8
	v_cmp_gt_i32_e32 vcc_lo, 32, v0
	v_cndmask_b32_e32 v0, v8, v0, vcc_lo
	v_lshlrev_b32_e32 v3, 2, v0
	ds_bpermute_b32 v0, v3, v6
	ds_bpermute_b32 v1, v3, v7
	;; [unrolled: 1-line block ×4, first 2 shown]
	s_waitcnt lgkmcnt(2)
	v_add_f64 v[0:1], v[6:7], v[0:1]
	s_waitcnt lgkmcnt(0)
	v_add_f64 v[2:3], v[4:5], v[2:3]
	v_xor_b32_e32 v4, 8, v8
	v_cmp_gt_i32_e32 vcc_lo, 32, v4
	v_cndmask_b32_e32 v4, v8, v4, vcc_lo
	v_lshlrev_b32_e32 v7, 2, v4
	ds_bpermute_b32 v4, v7, v0
	ds_bpermute_b32 v5, v7, v1
	ds_bpermute_b32 v6, v7, v2
	ds_bpermute_b32 v7, v7, v3
	s_waitcnt lgkmcnt(2)
	v_add_f64 v[0:1], v[0:1], v[4:5]
	v_xor_b32_e32 v4, 4, v8
	s_waitcnt lgkmcnt(0)
	v_add_f64 v[2:3], v[2:3], v[6:7]
	v_cmp_gt_i32_e32 vcc_lo, 32, v4
	v_cndmask_b32_e32 v4, v8, v4, vcc_lo
	v_lshlrev_b32_e32 v7, 2, v4
	ds_bpermute_b32 v4, v7, v0
	ds_bpermute_b32 v5, v7, v1
	ds_bpermute_b32 v6, v7, v2
	ds_bpermute_b32 v7, v7, v3
	s_waitcnt lgkmcnt(2)
	v_add_f64 v[0:1], v[0:1], v[4:5]
	v_xor_b32_e32 v4, 2, v8
	s_waitcnt lgkmcnt(0)
	v_add_f64 v[2:3], v[2:3], v[6:7]
	v_cmp_gt_i32_e32 vcc_lo, 32, v4
	v_cndmask_b32_e32 v4, v8, v4, vcc_lo
	v_lshlrev_b32_e32 v7, 2, v4
	ds_bpermute_b32 v4, v7, v0
	ds_bpermute_b32 v5, v7, v1
	ds_bpermute_b32 v6, v7, v2
	ds_bpermute_b32 v7, v7, v3
	s_waitcnt lgkmcnt(2)
	v_add_f64 v[0:1], v[0:1], v[4:5]
	v_xor_b32_e32 v4, 1, v8
	s_waitcnt lgkmcnt(0)
	v_add_f64 v[2:3], v[2:3], v[6:7]
	v_cmp_gt_i32_e32 vcc_lo, 32, v4
	v_cndmask_b32_e32 v4, v8, v4, vcc_lo
	v_lshlrev_b32_e32 v7, 2, v4
	ds_bpermute_b32 v4, v7, v0
	ds_bpermute_b32 v5, v7, v1
	;; [unrolled: 1-line block ×4, first 2 shown]
	s_waitcnt lgkmcnt(2)
	v_add_f64 v[0:1], v[0:1], v[4:5]
	s_waitcnt lgkmcnt(0)
	v_add_f64 v[2:3], v[2:3], v[6:7]
	s_cbranch_scc1 .LBB34_45
; %bb.44:
	s_lshl_b32 s4, s15, 4
	s_waitcnt_vscnt null, 0x0
	buffer_gl0_inv
	v_mov_b32_e32 v4, s4
	ds_read_b128 v[4:7], v4
	s_waitcnt lgkmcnt(0)
	v_mul_f64 v[8:9], v[6:7], -v[2:3]
	v_mul_f64 v[6:7], v[0:1], v[6:7]
	v_fma_f64 v[0:1], v[0:1], v[4:5], v[8:9]
	v_fma_f64 v[2:3], v[2:3], v[4:5], v[6:7]
.LBB34_45:
	s_mov_b32 s4, exec_lo
	v_cmpx_eq_u32_e32 31, v16
	s_cbranch_execz .LBB34_47
; %bb.46:
	s_lshl_b64 s[4:5], s[6:7], 4
	v_mov_b32_e32 v4, 0
	s_add_u32 s4, s8, s4
	s_addc_u32 s5, s9, s5
	s_lshl_b64 s[6:7], s[6:7], 2
	v_mov_b32_e32 v5, 1
	s_add_u32 s6, s10, s6
	s_addc_u32 s7, s11, s7
	global_store_dwordx4 v4, v[0:3], s[4:5] glc slc
	s_waitcnt_vscnt null, 0x0
	global_store_dword v4, v5, s[6:7]
.LBB34_47:
	s_endpgm
	.section	.rodata,"a",@progbits
	.p2align	6, 0x0
	.amdhsa_kernel _ZN9rocsparseL12csrsv_kernelILj1024ELj32ELb0Ell21rocsparse_complex_numIdEEEvT3_NS_24const_host_device_scalarIT4_EEPKT2_PKS3_PKS5_SD_lPS5_PiSB_iPS3_21rocsparse_index_base_20rocsparse_fill_mode_20rocsparse_diag_type_b
		.amdhsa_group_segment_fixed_size 512
		.amdhsa_private_segment_fixed_size 16
		.amdhsa_kernarg_size 120
		.amdhsa_user_sgpr_count 8
		.amdhsa_user_sgpr_private_segment_buffer 1
		.amdhsa_user_sgpr_dispatch_ptr 0
		.amdhsa_user_sgpr_queue_ptr 0
		.amdhsa_user_sgpr_kernarg_segment_ptr 1
		.amdhsa_user_sgpr_dispatch_id 0
		.amdhsa_user_sgpr_flat_scratch_init 1
		.amdhsa_user_sgpr_private_segment_size 0
		.amdhsa_wavefront_size32 1
		.amdhsa_uses_dynamic_stack 0
		.amdhsa_system_sgpr_private_segment_wavefront_offset 1
		.amdhsa_system_sgpr_workgroup_id_x 1
		.amdhsa_system_sgpr_workgroup_id_y 0
		.amdhsa_system_sgpr_workgroup_id_z 0
		.amdhsa_system_sgpr_workgroup_info 0
		.amdhsa_system_vgpr_workitem_id 0
		.amdhsa_next_free_vgpr 24
		.amdhsa_next_free_sgpr 34
		.amdhsa_reserve_vcc 1
		.amdhsa_reserve_flat_scratch 1
		.amdhsa_float_round_mode_32 0
		.amdhsa_float_round_mode_16_64 0
		.amdhsa_float_denorm_mode_32 3
		.amdhsa_float_denorm_mode_16_64 3
		.amdhsa_dx10_clamp 1
		.amdhsa_ieee_mode 1
		.amdhsa_fp16_overflow 0
		.amdhsa_workgroup_processor_mode 1
		.amdhsa_memory_ordered 1
		.amdhsa_forward_progress 1
		.amdhsa_shared_vgpr_count 0
		.amdhsa_exception_fp_ieee_invalid_op 0
		.amdhsa_exception_fp_denorm_src 0
		.amdhsa_exception_fp_ieee_div_zero 0
		.amdhsa_exception_fp_ieee_overflow 0
		.amdhsa_exception_fp_ieee_underflow 0
		.amdhsa_exception_fp_ieee_inexact 0
		.amdhsa_exception_int_div_zero 0
	.end_amdhsa_kernel
	.section	.text._ZN9rocsparseL12csrsv_kernelILj1024ELj32ELb0Ell21rocsparse_complex_numIdEEEvT3_NS_24const_host_device_scalarIT4_EEPKT2_PKS3_PKS5_SD_lPS5_PiSB_iPS3_21rocsparse_index_base_20rocsparse_fill_mode_20rocsparse_diag_type_b,"axG",@progbits,_ZN9rocsparseL12csrsv_kernelILj1024ELj32ELb0Ell21rocsparse_complex_numIdEEEvT3_NS_24const_host_device_scalarIT4_EEPKT2_PKS3_PKS5_SD_lPS5_PiSB_iPS3_21rocsparse_index_base_20rocsparse_fill_mode_20rocsparse_diag_type_b,comdat
.Lfunc_end34:
	.size	_ZN9rocsparseL12csrsv_kernelILj1024ELj32ELb0Ell21rocsparse_complex_numIdEEEvT3_NS_24const_host_device_scalarIT4_EEPKT2_PKS3_PKS5_SD_lPS5_PiSB_iPS3_21rocsparse_index_base_20rocsparse_fill_mode_20rocsparse_diag_type_b, .Lfunc_end34-_ZN9rocsparseL12csrsv_kernelILj1024ELj32ELb0Ell21rocsparse_complex_numIdEEEvT3_NS_24const_host_device_scalarIT4_EEPKT2_PKS3_PKS5_SD_lPS5_PiSB_iPS3_21rocsparse_index_base_20rocsparse_fill_mode_20rocsparse_diag_type_b
                                        ; -- End function
	.set _ZN9rocsparseL12csrsv_kernelILj1024ELj32ELb0Ell21rocsparse_complex_numIdEEEvT3_NS_24const_host_device_scalarIT4_EEPKT2_PKS3_PKS5_SD_lPS5_PiSB_iPS3_21rocsparse_index_base_20rocsparse_fill_mode_20rocsparse_diag_type_b.num_vgpr, 24
	.set _ZN9rocsparseL12csrsv_kernelILj1024ELj32ELb0Ell21rocsparse_complex_numIdEEEvT3_NS_24const_host_device_scalarIT4_EEPKT2_PKS3_PKS5_SD_lPS5_PiSB_iPS3_21rocsparse_index_base_20rocsparse_fill_mode_20rocsparse_diag_type_b.num_agpr, 0
	.set _ZN9rocsparseL12csrsv_kernelILj1024ELj32ELb0Ell21rocsparse_complex_numIdEEEvT3_NS_24const_host_device_scalarIT4_EEPKT2_PKS3_PKS5_SD_lPS5_PiSB_iPS3_21rocsparse_index_base_20rocsparse_fill_mode_20rocsparse_diag_type_b.numbered_sgpr, 34
	.set _ZN9rocsparseL12csrsv_kernelILj1024ELj32ELb0Ell21rocsparse_complex_numIdEEEvT3_NS_24const_host_device_scalarIT4_EEPKT2_PKS3_PKS5_SD_lPS5_PiSB_iPS3_21rocsparse_index_base_20rocsparse_fill_mode_20rocsparse_diag_type_b.num_named_barrier, 0
	.set _ZN9rocsparseL12csrsv_kernelILj1024ELj32ELb0Ell21rocsparse_complex_numIdEEEvT3_NS_24const_host_device_scalarIT4_EEPKT2_PKS3_PKS5_SD_lPS5_PiSB_iPS3_21rocsparse_index_base_20rocsparse_fill_mode_20rocsparse_diag_type_b.private_seg_size, 16
	.set _ZN9rocsparseL12csrsv_kernelILj1024ELj32ELb0Ell21rocsparse_complex_numIdEEEvT3_NS_24const_host_device_scalarIT4_EEPKT2_PKS3_PKS5_SD_lPS5_PiSB_iPS3_21rocsparse_index_base_20rocsparse_fill_mode_20rocsparse_diag_type_b.uses_vcc, 1
	.set _ZN9rocsparseL12csrsv_kernelILj1024ELj32ELb0Ell21rocsparse_complex_numIdEEEvT3_NS_24const_host_device_scalarIT4_EEPKT2_PKS3_PKS5_SD_lPS5_PiSB_iPS3_21rocsparse_index_base_20rocsparse_fill_mode_20rocsparse_diag_type_b.uses_flat_scratch, 1
	.set _ZN9rocsparseL12csrsv_kernelILj1024ELj32ELb0Ell21rocsparse_complex_numIdEEEvT3_NS_24const_host_device_scalarIT4_EEPKT2_PKS3_PKS5_SD_lPS5_PiSB_iPS3_21rocsparse_index_base_20rocsparse_fill_mode_20rocsparse_diag_type_b.has_dyn_sized_stack, 0
	.set _ZN9rocsparseL12csrsv_kernelILj1024ELj32ELb0Ell21rocsparse_complex_numIdEEEvT3_NS_24const_host_device_scalarIT4_EEPKT2_PKS3_PKS5_SD_lPS5_PiSB_iPS3_21rocsparse_index_base_20rocsparse_fill_mode_20rocsparse_diag_type_b.has_recursion, 0
	.set _ZN9rocsparseL12csrsv_kernelILj1024ELj32ELb0Ell21rocsparse_complex_numIdEEEvT3_NS_24const_host_device_scalarIT4_EEPKT2_PKS3_PKS5_SD_lPS5_PiSB_iPS3_21rocsparse_index_base_20rocsparse_fill_mode_20rocsparse_diag_type_b.has_indirect_call, 0
	.section	.AMDGPU.csdata,"",@progbits
; Kernel info:
; codeLenInByte = 2048
; TotalNumSgprs: 36
; NumVgprs: 24
; ScratchSize: 16
; MemoryBound: 0
; FloatMode: 240
; IeeeMode: 1
; LDSByteSize: 512 bytes/workgroup (compile time only)
; SGPRBlocks: 0
; VGPRBlocks: 2
; NumSGPRsForWavesPerEU: 36
; NumVGPRsForWavesPerEU: 24
; Occupancy: 16
; WaveLimiterHint : 1
; COMPUTE_PGM_RSRC2:SCRATCH_EN: 1
; COMPUTE_PGM_RSRC2:USER_SGPR: 8
; COMPUTE_PGM_RSRC2:TRAP_HANDLER: 0
; COMPUTE_PGM_RSRC2:TGID_X_EN: 1
; COMPUTE_PGM_RSRC2:TGID_Y_EN: 0
; COMPUTE_PGM_RSRC2:TGID_Z_EN: 0
; COMPUTE_PGM_RSRC2:TIDIG_COMP_CNT: 0
	.section	.text._ZN9rocsparseL12csrsv_kernelILj1024ELj64ELb0Ell21rocsparse_complex_numIdEEEvT3_NS_24const_host_device_scalarIT4_EEPKT2_PKS3_PKS5_SD_lPS5_PiSB_iPS3_21rocsparse_index_base_20rocsparse_fill_mode_20rocsparse_diag_type_b,"axG",@progbits,_ZN9rocsparseL12csrsv_kernelILj1024ELj64ELb0Ell21rocsparse_complex_numIdEEEvT3_NS_24const_host_device_scalarIT4_EEPKT2_PKS3_PKS5_SD_lPS5_PiSB_iPS3_21rocsparse_index_base_20rocsparse_fill_mode_20rocsparse_diag_type_b,comdat
	.globl	_ZN9rocsparseL12csrsv_kernelILj1024ELj64ELb0Ell21rocsparse_complex_numIdEEEvT3_NS_24const_host_device_scalarIT4_EEPKT2_PKS3_PKS5_SD_lPS5_PiSB_iPS3_21rocsparse_index_base_20rocsparse_fill_mode_20rocsparse_diag_type_b ; -- Begin function _ZN9rocsparseL12csrsv_kernelILj1024ELj64ELb0Ell21rocsparse_complex_numIdEEEvT3_NS_24const_host_device_scalarIT4_EEPKT2_PKS3_PKS5_SD_lPS5_PiSB_iPS3_21rocsparse_index_base_20rocsparse_fill_mode_20rocsparse_diag_type_b
	.p2align	8
	.type	_ZN9rocsparseL12csrsv_kernelILj1024ELj64ELb0Ell21rocsparse_complex_numIdEEEvT3_NS_24const_host_device_scalarIT4_EEPKT2_PKS3_PKS5_SD_lPS5_PiSB_iPS3_21rocsparse_index_base_20rocsparse_fill_mode_20rocsparse_diag_type_b,@function
_ZN9rocsparseL12csrsv_kernelILj1024ELj64ELb0Ell21rocsparse_complex_numIdEEEvT3_NS_24const_host_device_scalarIT4_EEPKT2_PKS3_PKS5_SD_lPS5_PiSB_iPS3_21rocsparse_index_base_20rocsparse_fill_mode_20rocsparse_diag_type_b: ; @_ZN9rocsparseL12csrsv_kernelILj1024ELj64ELb0Ell21rocsparse_complex_numIdEEEvT3_NS_24const_host_device_scalarIT4_EEPKT2_PKS3_PKS5_SD_lPS5_PiSB_iPS3_21rocsparse_index_base_20rocsparse_fill_mode_20rocsparse_diag_type_b
; %bb.0:
	s_add_u32 s6, s6, s9
	s_addc_u32 s7, s7, 0
	s_setreg_b32 hwreg(HW_REG_FLAT_SCR_LO), s6
	s_setreg_b32 hwreg(HW_REG_FLAT_SCR_HI), s7
	s_clause 0x2
	s_load_dwordx4 s[12:15], s[4:5], 0x68
	s_load_dwordx4 s[16:19], s[4:5], 0x0
	s_load_dwordx2 s[10:11], s[4:5], 0x10
	s_add_u32 s0, s0, s9
	s_addc_u32 s1, s1, 0
	s_mov_b64 s[6:7], src_private_base
	s_waitcnt lgkmcnt(0)
	s_bitcmp1_b32 s15, 0
	v_mov_b32_e32 v3, s19
	s_cselect_b32 s6, -1, 0
	v_mov_b32_e32 v4, s18
	s_and_b32 vcc_lo, s6, exec_lo
	s_cselect_b32 s6, 0, s18
	s_cselect_b32 s7, s7, s19
	v_mov_b32_e32 v1, s6
	v_mov_b32_e32 v2, s7
	buffer_store_dword v3, off, s[0:3], 0 offset:4
	buffer_store_dword v4, off, s[0:3], 0
	v_mov_b32_e32 v8, s10
	v_mov_b32_e32 v9, s11
	flat_load_dwordx2 v[1:2], v[1:2]
	s_cbranch_vccnz .LBB35_2
; %bb.1:
	v_mov_b32_e32 v3, s18
	v_mov_b32_e32 v4, s19
	flat_load_dwordx2 v[8:9], v[3:4] offset:8
.LBB35_2:
	v_readfirstlane_b32 s6, v0
	s_lshl_b32 s7, s8, 4
	s_lshr_b32 s15, s6, 6
	s_add_i32 s6, s15, s7
	s_mov_b32 s7, 0
	v_cmp_le_i64_e64 s8, s[16:17], s[6:7]
	s_and_b32 vcc_lo, exec_lo, s8
	s_cbranch_vccnz .LBB35_47
; %bb.3:
	s_clause 0x1
	s_load_dword s8, s[4:5], 0x58
	s_load_dwordx2 s[10:11], s[4:5], 0x50
	s_lshl_b64 s[6:7], s[6:7], 3
	v_mov_b32_e32 v6, 0
	v_mov_b32_e32 v4, 0
	v_and_b32_e32 v16, 63, v0
	v_mov_b32_e32 v7, 0
	v_mov_b32_e32 v5, 0
	s_mov_b32 s20, exec_lo
	s_waitcnt lgkmcnt(0)
	s_ashr_i32 s9, s8, 31
	s_add_u32 s10, s10, s6
	s_addc_u32 s11, s11, s7
	s_lshl_b64 s[6:7], s[8:9], 3
	s_add_u32 s6, s10, s6
	s_addc_u32 s7, s11, s7
	s_load_dwordx2 s[6:7], s[6:7], 0x0
	s_load_dwordx2 s[8:9], s[4:5], 0x18
	s_waitcnt lgkmcnt(0)
	s_lshl_b64 s[10:11], s[6:7], 3
	s_add_u32 s16, s8, s10
	s_addc_u32 s17, s9, s11
	s_load_dwordx4 s[8:11], s[4:5], 0x40
	s_load_dwordx4 s[16:19], s[16:17], 0x0
	v_cmpx_eq_u32_e32 0, v16
	s_cbranch_execz .LBB35_5
; %bb.4:
	s_load_dwordx4 s[24:27], s[4:5], 0x30
	s_waitcnt lgkmcnt(0)
	s_mul_i32 s21, s6, s27
	s_mul_hi_u32 s22, s6, s26
	s_mul_i32 s23, s7, s26
	s_add_i32 s21, s22, s21
	s_mul_i32 s22, s6, s26
	s_add_i32 s23, s21, s23
	s_lshl_b64 s[22:23], s[22:23], 4
	s_add_u32 s22, s24, s22
	s_addc_u32 s23, s25, s23
	s_load_dwordx4 s[24:27], s[22:23], 0x0
	s_waitcnt vmcnt(0) lgkmcnt(0)
	v_mul_f64 v[3:4], s[26:27], -v[8:9]
	v_mul_f64 v[10:11], v[1:2], s[26:27]
	v_fma_f64 v[6:7], v[1:2], s[24:25], v[3:4]
	v_fma_f64 v[4:5], v[8:9], s[24:25], v[10:11]
.LBB35_5:
	s_or_b32 exec_lo, exec_lo, s20
	v_sub_co_u32 v0, s20, v16, s12
	s_waitcnt vmcnt(0)
	v_sub_co_ci_u32_e64 v1, null, 0, 0, s20
	v_mov_b32_e32 v17, 0
	s_waitcnt lgkmcnt(0)
	v_add_co_u32 v8, vcc_lo, s16, v0
	v_add_co_ci_u32_e64 v9, null, s17, v1, vcc_lo
	s_sub_u32 s20, s18, s12
	s_subb_u32 s21, s19, 0
	s_mov_b32 s27, 0
	s_mov_b32 s26, exec_lo
	v_cmpx_gt_i64_e64 s[20:21], v[8:9]
	s_cbranch_execz .LBB35_43
; %bb.6:
	s_clause 0x1
	s_load_dwordx2 s[22:23], s[4:5], 0x60
	s_load_dwordx4 s[16:19], s[4:5], 0x20
	s_cmp_eq_u32 s14, 0
	s_cselect_b32 s28, -1, 0
	s_add_u32 s24, s6, s12
	s_addc_u32 s25, s7, 0
	s_lshl_b32 s29, s15, 4
	s_branch .LBB35_8
.LBB35_7:                               ;   in Loop: Header=BB35_8 Depth=1
	s_or_b32 exec_lo, exec_lo, s5
	s_and_b32 s4, exec_lo, s4
	s_or_b32 s27, s4, s27
	s_andn2_b32 exec_lo, exec_lo, s27
	s_cbranch_execz .LBB35_42
.LBB35_8:                               ; =>This Loop Header: Depth=1
                                        ;     Child Loop BB35_32 Depth 2
	v_lshlrev_b64 v[0:1], 4, v[8:9]
	v_lshlrev_b64 v[10:11], 3, v[8:9]
	s_waitcnt lgkmcnt(0)
	v_add_co_u32 v0, vcc_lo, s18, v0
	v_add_co_ci_u32_e64 v1, null, s19, v1, vcc_lo
	v_add_co_u32 v10, vcc_lo, s16, v10
	v_add_co_ci_u32_e64 v11, null, s17, v11, vcc_lo
	global_load_dwordx4 v[0:3], v[0:1], off slc
	global_load_dwordx2 v[10:11], v[10:11], off slc
	s_waitcnt vmcnt(1)
	v_cmp_eq_f64_e64 s4, 0, v[0:1]
	v_cmp_eq_f64_e64 s5, 0, v[2:3]
	s_waitcnt vmcnt(0)
	v_sub_co_u32 v10, vcc_lo, v10, s12
	v_subrev_co_ci_u32_e64 v11, null, 0, v11, vcc_lo
	v_cmp_eq_u64_e32 vcc_lo, s[6:7], v[10:11]
	s_and_b32 s5, s4, s5
	v_cmp_ne_u64_e64 s4, s[6:7], v[10:11]
	s_and_b32 s5, s5, vcc_lo
	s_and_b32 s5, s28, s5
	s_and_saveexec_b32 s30, s5
	s_cbranch_execz .LBB35_12
; %bb.9:                                ;   in Loop: Header=BB35_8 Depth=1
	v_mbcnt_lo_u32_b32 v0, exec_lo, 0
	s_mov_b32 s31, exec_lo
	v_cmpx_eq_u32_e32 0, v0
	s_cbranch_execz .LBB35_11
; %bb.10:                               ;   in Loop: Header=BB35_8 Depth=1
	v_mov_b32_e32 v0, s24
	v_mov_b32_e32 v1, s25
	global_atomic_umin_x2 v17, v[0:1], s[22:23]
.LBB35_11:                              ;   in Loop: Header=BB35_8 Depth=1
	s_or_b32 exec_lo, exec_lo, s31
	v_mov_b32_e32 v2, 0
	v_mov_b32_e32 v0, 0
	;; [unrolled: 1-line block ×4, first 2 shown]
.LBB35_12:                              ;   in Loop: Header=BB35_8 Depth=1
	s_or_b32 exec_lo, exec_lo, s30
	s_mov_b32 s5, -1
	s_mov_b32 s30, 0
	s_cmp_lt_i32 s13, 1
	s_mov_b32 s31, 0
	s_cbranch_scc1 .LBB35_22
; %bb.13:                               ;   in Loop: Header=BB35_8 Depth=1
	s_cmp_eq_u32 s13, 1
	s_mov_b32 s31, -1
	s_cbranch_scc0 .LBB35_21
; %bb.14:                               ;   in Loop: Header=BB35_8 Depth=1
	s_mov_b32 s31, 0
	s_mov_b32 s33, exec_lo
	v_cmpx_le_i64_e64 s[6:7], v[10:11]
	s_cbranch_execz .LBB35_20
; %bb.15:                               ;   in Loop: Header=BB35_8 Depth=1
	s_mov_b32 s31, -1
	s_and_saveexec_b32 s5, vcc_lo
	s_xor_b32 s5, exec_lo, s5
	s_cbranch_execz .LBB35_19
; %bb.16:                               ;   in Loop: Header=BB35_8 Depth=1
	s_andn2_b32 vcc_lo, exec_lo, s28
	s_cbranch_vccnz .LBB35_18
; %bb.17:                               ;   in Loop: Header=BB35_8 Depth=1
	v_mul_f64 v[12:13], v[2:3], v[2:3]
	v_fma_f64 v[12:13], v[0:1], v[0:1], v[12:13]
	v_div_scale_f64 v[14:15], null, v[12:13], v[12:13], 1.0
	v_div_scale_f64 v[22:23], vcc_lo, 1.0, v[12:13], 1.0
	v_rcp_f64_e32 v[18:19], v[14:15]
	v_fma_f64 v[20:21], -v[14:15], v[18:19], 1.0
	v_fma_f64 v[18:19], v[18:19], v[20:21], v[18:19]
	v_fma_f64 v[20:21], -v[14:15], v[18:19], 1.0
	v_fma_f64 v[18:19], v[18:19], v[20:21], v[18:19]
	v_mul_f64 v[20:21], v[22:23], v[18:19]
	v_fma_f64 v[14:15], -v[14:15], v[20:21], v[22:23]
	v_div_fmas_f64 v[14:15], v[14:15], v[18:19], v[20:21]
	v_fma_f64 v[18:19], v[2:3], 0, v[0:1]
	v_fma_f64 v[20:21], v[0:1], 0, -v[2:3]
	v_div_fixup_f64 v[14:15], v[14:15], v[12:13], 1.0
	v_mul_f64 v[12:13], v[18:19], v[14:15]
	v_mul_f64 v[14:15], v[20:21], v[14:15]
	v_mov_b32_e32 v18, s29
	ds_write_b128 v18, v[12:15]
.LBB35_18:                              ;   in Loop: Header=BB35_8 Depth=1
	s_xor_b32 s31, exec_lo, -1
.LBB35_19:                              ;   in Loop: Header=BB35_8 Depth=1
	s_or_b32 exec_lo, exec_lo, s5
	s_and_b32 s31, s31, exec_lo
.LBB35_20:                              ;   in Loop: Header=BB35_8 Depth=1
	s_or_b32 exec_lo, exec_lo, s33
.LBB35_21:                              ;   in Loop: Header=BB35_8 Depth=1
	s_mov_b32 s5, 0
.LBB35_22:                              ;   in Loop: Header=BB35_8 Depth=1
	s_and_b32 vcc_lo, exec_lo, s5
	s_mov_b32 s5, 4
	s_cbranch_vccz .LBB35_29
; %bb.23:                               ;   in Loop: Header=BB35_8 Depth=1
	s_cmp_eq_u32 s13, 0
	s_cbranch_scc1 .LBB35_25
; %bb.24:                               ;   in Loop: Header=BB35_8 Depth=1
	s_mov_b32 s31, -1
	s_branch .LBB35_28
.LBB35_25:                              ;   in Loop: Header=BB35_8 Depth=1
	s_mov_b32 s31, 0
	s_mov_b32 s5, exec_lo
	v_cmpx_ge_i64_e64 s[6:7], v[10:11]
; %bb.26:                               ;   in Loop: Header=BB35_8 Depth=1
	s_mov_b32 s30, exec_lo
	s_and_b32 s31, s4, exec_lo
; %bb.27:                               ;   in Loop: Header=BB35_8 Depth=1
	s_or_b32 exec_lo, exec_lo, s5
.LBB35_28:                              ;   in Loop: Header=BB35_8 Depth=1
	s_mov_b32 s5, 2
.LBB35_29:                              ;   in Loop: Header=BB35_8 Depth=1
	v_mov_b32_e32 v15, v5
	v_mov_b32_e32 v13, v7
	;; [unrolled: 1-line block ×5, first 2 shown]
	s_and_saveexec_b32 s4, s31
	s_cbranch_execz .LBB35_34
; %bb.30:                               ;   in Loop: Header=BB35_8 Depth=1
	v_lshlrev_b64 v[12:13], 2, v[10:11]
	s_mov_b32 s5, exec_lo
	v_add_co_u32 v12, vcc_lo, s10, v12
	v_add_co_ci_u32_e64 v13, null, s11, v13, vcc_lo
	global_load_dword v14, v[12:13], off glc dlc
	s_waitcnt vmcnt(0)
	v_cmpx_eq_u32_e32 0, v14
	s_cbranch_execz .LBB35_33
; %bb.31:                               ;   in Loop: Header=BB35_8 Depth=1
	s_mov_b32 s31, 0
.LBB35_32:                              ;   Parent Loop BB35_8 Depth=1
                                        ; =>  This Inner Loop Header: Depth=2
	global_load_dword v14, v[12:13], off glc dlc
	s_waitcnt vmcnt(0)
	v_cmp_ne_u32_e32 vcc_lo, 0, v14
	s_or_b32 s31, vcc_lo, s31
	s_andn2_b32 exec_lo, exec_lo, s31
	s_cbranch_execnz .LBB35_32
.LBB35_33:                              ;   in Loop: Header=BB35_8 Depth=1
	s_or_b32 exec_lo, exec_lo, s5
	v_lshlrev_b64 v[10:11], 4, v[10:11]
	s_waitcnt lgkmcnt(0)
	s_waitcnt_vscnt null, 0x0
	buffer_gl1_inv
	buffer_gl0_inv
	s_andn2_b32 s30, s30, exec_lo
	v_add_co_u32 v10, vcc_lo, s8, v10
	v_add_co_ci_u32_e64 v11, null, s9, v11, vcc_lo
	global_load_dwordx4 v[12:15], v[10:11], off
	s_waitcnt vmcnt(0)
	v_fma_f64 v[10:11], -v[0:1], v[12:13], v[6:7]
	v_fma_f64 v[18:19], -v[2:3], v[12:13], v[4:5]
	v_fma_f64 v[12:13], v[2:3], v[14:15], v[10:11]
	v_fma_f64 v[14:15], -v[0:1], v[14:15], v[18:19]
	v_mov_b32_e32 v18, 0
.LBB35_34:                              ;   in Loop: Header=BB35_8 Depth=1
	s_or_b32 exec_lo, exec_lo, s4
	s_and_saveexec_b32 s4, s30
	s_cbranch_execz .LBB35_38
; %bb.35:                               ;   in Loop: Header=BB35_8 Depth=1
	s_andn2_b32 vcc_lo, exec_lo, s28
	s_cbranch_vccnz .LBB35_37
; %bb.36:                               ;   in Loop: Header=BB35_8 Depth=1
	v_mul_f64 v[10:11], v[2:3], v[2:3]
	v_fma_f64 v[10:11], v[0:1], v[0:1], v[10:11]
	v_div_scale_f64 v[12:13], null, v[10:11], v[10:11], 1.0
	v_div_scale_f64 v[20:21], vcc_lo, 1.0, v[10:11], 1.0
	v_rcp_f64_e32 v[14:15], v[12:13]
	v_fma_f64 v[18:19], -v[12:13], v[14:15], 1.0
	v_fma_f64 v[14:15], v[14:15], v[18:19], v[14:15]
	v_fma_f64 v[18:19], -v[12:13], v[14:15], 1.0
	v_fma_f64 v[14:15], v[14:15], v[18:19], v[14:15]
	v_mul_f64 v[18:19], v[20:21], v[14:15]
	v_fma_f64 v[12:13], -v[12:13], v[18:19], v[20:21]
	v_div_fmas_f64 v[12:13], v[12:13], v[14:15], v[18:19]
	v_fma_f64 v[14:15], v[2:3], 0, v[0:1]
	v_fma_f64 v[2:3], v[0:1], 0, -v[2:3]
	v_div_fixup_f64 v[10:11], v[12:13], v[10:11], 1.0
	v_mul_f64 v[0:1], v[14:15], v[10:11]
	v_mul_f64 v[2:3], v[2:3], v[10:11]
	v_mov_b32_e32 v10, s29
	ds_write_b128 v10, v[0:3]
.LBB35_37:                              ;   in Loop: Header=BB35_8 Depth=1
	v_mov_b32_e32 v13, v7
	v_mov_b32_e32 v15, v5
	;; [unrolled: 1-line block ×5, first 2 shown]
.LBB35_38:                              ;   in Loop: Header=BB35_8 Depth=1
	s_or_b32 exec_lo, exec_lo, s4
	v_mov_b32_e32 v4, v14
	v_mov_b32_e32 v6, v12
	;; [unrolled: 1-line block ×4, first 2 shown]
	s_mov_b32 s4, -1
	s_mov_b32 s30, -1
	s_mov_b32 s5, exec_lo
	v_cmpx_gt_i32_e32 4, v18
; %bb.39:                               ;   in Loop: Header=BB35_8 Depth=1
	v_cmp_eq_u32_e32 vcc_lo, 0, v18
	s_orn2_b32 s30, vcc_lo, exec_lo
; %bb.40:                               ;   in Loop: Header=BB35_8 Depth=1
	s_or_b32 exec_lo, exec_lo, s5
	s_and_saveexec_b32 s5, s30
	s_cbranch_execz .LBB35_7
; %bb.41:                               ;   in Loop: Header=BB35_8 Depth=1
	v_add_co_u32 v8, vcc_lo, v8, 64
	v_add_co_ci_u32_e64 v9, null, 0, v9, vcc_lo
	v_cmp_le_i64_e32 vcc_lo, s[20:21], v[8:9]
	s_orn2_b32 s4, vcc_lo, exec_lo
	s_branch .LBB35_7
.LBB35_42:
	s_or_b32 exec_lo, exec_lo, s27
.LBB35_43:
	s_or_b32 exec_lo, exec_lo, s26
	v_mbcnt_lo_u32_b32 v8, -1, 0
	s_cmp_lg_u32 s14, 0
	v_or_b32_e32 v0, 32, v8
	v_cmp_gt_i32_e32 vcc_lo, 32, v0
	v_cndmask_b32_e32 v0, v8, v0, vcc_lo
	v_lshlrev_b32_e32 v3, 2, v0
	ds_bpermute_b32 v0, v3, v6
	ds_bpermute_b32 v1, v3, v7
	;; [unrolled: 1-line block ×4, first 2 shown]
	s_waitcnt lgkmcnt(2)
	v_add_f64 v[0:1], v[6:7], v[0:1]
	s_waitcnt lgkmcnt(0)
	v_add_f64 v[2:3], v[4:5], v[2:3]
	v_xor_b32_e32 v4, 16, v8
	v_cmp_gt_i32_e32 vcc_lo, 32, v4
	v_cndmask_b32_e32 v4, v8, v4, vcc_lo
	v_lshlrev_b32_e32 v7, 2, v4
	ds_bpermute_b32 v4, v7, v0
	ds_bpermute_b32 v5, v7, v1
	ds_bpermute_b32 v6, v7, v2
	ds_bpermute_b32 v7, v7, v3
	s_waitcnt lgkmcnt(2)
	v_add_f64 v[0:1], v[0:1], v[4:5]
	v_xor_b32_e32 v4, 8, v8
	s_waitcnt lgkmcnt(0)
	v_add_f64 v[2:3], v[2:3], v[6:7]
	v_cmp_gt_i32_e32 vcc_lo, 32, v4
	v_cndmask_b32_e32 v4, v8, v4, vcc_lo
	v_lshlrev_b32_e32 v7, 2, v4
	ds_bpermute_b32 v4, v7, v0
	ds_bpermute_b32 v5, v7, v1
	ds_bpermute_b32 v6, v7, v2
	ds_bpermute_b32 v7, v7, v3
	s_waitcnt lgkmcnt(2)
	v_add_f64 v[0:1], v[0:1], v[4:5]
	v_xor_b32_e32 v4, 4, v8
	s_waitcnt lgkmcnt(0)
	v_add_f64 v[2:3], v[2:3], v[6:7]
	;; [unrolled: 12-line block ×4, first 2 shown]
	v_cmp_gt_i32_e32 vcc_lo, 32, v4
	v_cndmask_b32_e32 v4, v8, v4, vcc_lo
	v_lshlrev_b32_e32 v7, 2, v4
	ds_bpermute_b32 v4, v7, v0
	ds_bpermute_b32 v5, v7, v1
	;; [unrolled: 1-line block ×4, first 2 shown]
	s_waitcnt lgkmcnt(2)
	v_add_f64 v[0:1], v[0:1], v[4:5]
	s_waitcnt lgkmcnt(0)
	v_add_f64 v[2:3], v[2:3], v[6:7]
	s_cbranch_scc1 .LBB35_45
; %bb.44:
	s_lshl_b32 s4, s15, 4
	s_waitcnt_vscnt null, 0x0
	buffer_gl0_inv
	v_mov_b32_e32 v4, s4
	ds_read_b128 v[4:7], v4
	s_waitcnt lgkmcnt(0)
	v_mul_f64 v[8:9], v[6:7], -v[2:3]
	v_mul_f64 v[6:7], v[0:1], v[6:7]
	v_fma_f64 v[0:1], v[0:1], v[4:5], v[8:9]
	v_fma_f64 v[2:3], v[2:3], v[4:5], v[6:7]
.LBB35_45:
	s_mov_b32 s4, exec_lo
	v_cmpx_eq_u32_e32 63, v16
	s_cbranch_execz .LBB35_47
; %bb.46:
	s_lshl_b64 s[4:5], s[6:7], 4
	v_mov_b32_e32 v4, 0
	s_add_u32 s4, s8, s4
	s_addc_u32 s5, s9, s5
	s_lshl_b64 s[6:7], s[6:7], 2
	v_mov_b32_e32 v5, 1
	s_add_u32 s6, s10, s6
	s_addc_u32 s7, s11, s7
	global_store_dwordx4 v4, v[0:3], s[4:5] glc slc
	s_waitcnt_vscnt null, 0x0
	global_store_dword v4, v5, s[6:7]
.LBB35_47:
	s_endpgm
	.section	.rodata,"a",@progbits
	.p2align	6, 0x0
	.amdhsa_kernel _ZN9rocsparseL12csrsv_kernelILj1024ELj64ELb0Ell21rocsparse_complex_numIdEEEvT3_NS_24const_host_device_scalarIT4_EEPKT2_PKS3_PKS5_SD_lPS5_PiSB_iPS3_21rocsparse_index_base_20rocsparse_fill_mode_20rocsparse_diag_type_b
		.amdhsa_group_segment_fixed_size 256
		.amdhsa_private_segment_fixed_size 16
		.amdhsa_kernarg_size 120
		.amdhsa_user_sgpr_count 8
		.amdhsa_user_sgpr_private_segment_buffer 1
		.amdhsa_user_sgpr_dispatch_ptr 0
		.amdhsa_user_sgpr_queue_ptr 0
		.amdhsa_user_sgpr_kernarg_segment_ptr 1
		.amdhsa_user_sgpr_dispatch_id 0
		.amdhsa_user_sgpr_flat_scratch_init 1
		.amdhsa_user_sgpr_private_segment_size 0
		.amdhsa_wavefront_size32 1
		.amdhsa_uses_dynamic_stack 0
		.amdhsa_system_sgpr_private_segment_wavefront_offset 1
		.amdhsa_system_sgpr_workgroup_id_x 1
		.amdhsa_system_sgpr_workgroup_id_y 0
		.amdhsa_system_sgpr_workgroup_id_z 0
		.amdhsa_system_sgpr_workgroup_info 0
		.amdhsa_system_vgpr_workitem_id 0
		.amdhsa_next_free_vgpr 24
		.amdhsa_next_free_sgpr 34
		.amdhsa_reserve_vcc 1
		.amdhsa_reserve_flat_scratch 1
		.amdhsa_float_round_mode_32 0
		.amdhsa_float_round_mode_16_64 0
		.amdhsa_float_denorm_mode_32 3
		.amdhsa_float_denorm_mode_16_64 3
		.amdhsa_dx10_clamp 1
		.amdhsa_ieee_mode 1
		.amdhsa_fp16_overflow 0
		.amdhsa_workgroup_processor_mode 1
		.amdhsa_memory_ordered 1
		.amdhsa_forward_progress 1
		.amdhsa_shared_vgpr_count 0
		.amdhsa_exception_fp_ieee_invalid_op 0
		.amdhsa_exception_fp_denorm_src 0
		.amdhsa_exception_fp_ieee_div_zero 0
		.amdhsa_exception_fp_ieee_overflow 0
		.amdhsa_exception_fp_ieee_underflow 0
		.amdhsa_exception_fp_ieee_inexact 0
		.amdhsa_exception_int_div_zero 0
	.end_amdhsa_kernel
	.section	.text._ZN9rocsparseL12csrsv_kernelILj1024ELj64ELb0Ell21rocsparse_complex_numIdEEEvT3_NS_24const_host_device_scalarIT4_EEPKT2_PKS3_PKS5_SD_lPS5_PiSB_iPS3_21rocsparse_index_base_20rocsparse_fill_mode_20rocsparse_diag_type_b,"axG",@progbits,_ZN9rocsparseL12csrsv_kernelILj1024ELj64ELb0Ell21rocsparse_complex_numIdEEEvT3_NS_24const_host_device_scalarIT4_EEPKT2_PKS3_PKS5_SD_lPS5_PiSB_iPS3_21rocsparse_index_base_20rocsparse_fill_mode_20rocsparse_diag_type_b,comdat
.Lfunc_end35:
	.size	_ZN9rocsparseL12csrsv_kernelILj1024ELj64ELb0Ell21rocsparse_complex_numIdEEEvT3_NS_24const_host_device_scalarIT4_EEPKT2_PKS3_PKS5_SD_lPS5_PiSB_iPS3_21rocsparse_index_base_20rocsparse_fill_mode_20rocsparse_diag_type_b, .Lfunc_end35-_ZN9rocsparseL12csrsv_kernelILj1024ELj64ELb0Ell21rocsparse_complex_numIdEEEvT3_NS_24const_host_device_scalarIT4_EEPKT2_PKS3_PKS5_SD_lPS5_PiSB_iPS3_21rocsparse_index_base_20rocsparse_fill_mode_20rocsparse_diag_type_b
                                        ; -- End function
	.set _ZN9rocsparseL12csrsv_kernelILj1024ELj64ELb0Ell21rocsparse_complex_numIdEEEvT3_NS_24const_host_device_scalarIT4_EEPKT2_PKS3_PKS5_SD_lPS5_PiSB_iPS3_21rocsparse_index_base_20rocsparse_fill_mode_20rocsparse_diag_type_b.num_vgpr, 24
	.set _ZN9rocsparseL12csrsv_kernelILj1024ELj64ELb0Ell21rocsparse_complex_numIdEEEvT3_NS_24const_host_device_scalarIT4_EEPKT2_PKS3_PKS5_SD_lPS5_PiSB_iPS3_21rocsparse_index_base_20rocsparse_fill_mode_20rocsparse_diag_type_b.num_agpr, 0
	.set _ZN9rocsparseL12csrsv_kernelILj1024ELj64ELb0Ell21rocsparse_complex_numIdEEEvT3_NS_24const_host_device_scalarIT4_EEPKT2_PKS3_PKS5_SD_lPS5_PiSB_iPS3_21rocsparse_index_base_20rocsparse_fill_mode_20rocsparse_diag_type_b.numbered_sgpr, 34
	.set _ZN9rocsparseL12csrsv_kernelILj1024ELj64ELb0Ell21rocsparse_complex_numIdEEEvT3_NS_24const_host_device_scalarIT4_EEPKT2_PKS3_PKS5_SD_lPS5_PiSB_iPS3_21rocsparse_index_base_20rocsparse_fill_mode_20rocsparse_diag_type_b.num_named_barrier, 0
	.set _ZN9rocsparseL12csrsv_kernelILj1024ELj64ELb0Ell21rocsparse_complex_numIdEEEvT3_NS_24const_host_device_scalarIT4_EEPKT2_PKS3_PKS5_SD_lPS5_PiSB_iPS3_21rocsparse_index_base_20rocsparse_fill_mode_20rocsparse_diag_type_b.private_seg_size, 16
	.set _ZN9rocsparseL12csrsv_kernelILj1024ELj64ELb0Ell21rocsparse_complex_numIdEEEvT3_NS_24const_host_device_scalarIT4_EEPKT2_PKS3_PKS5_SD_lPS5_PiSB_iPS3_21rocsparse_index_base_20rocsparse_fill_mode_20rocsparse_diag_type_b.uses_vcc, 1
	.set _ZN9rocsparseL12csrsv_kernelILj1024ELj64ELb0Ell21rocsparse_complex_numIdEEEvT3_NS_24const_host_device_scalarIT4_EEPKT2_PKS3_PKS5_SD_lPS5_PiSB_iPS3_21rocsparse_index_base_20rocsparse_fill_mode_20rocsparse_diag_type_b.uses_flat_scratch, 1
	.set _ZN9rocsparseL12csrsv_kernelILj1024ELj64ELb0Ell21rocsparse_complex_numIdEEEvT3_NS_24const_host_device_scalarIT4_EEPKT2_PKS3_PKS5_SD_lPS5_PiSB_iPS3_21rocsparse_index_base_20rocsparse_fill_mode_20rocsparse_diag_type_b.has_dyn_sized_stack, 0
	.set _ZN9rocsparseL12csrsv_kernelILj1024ELj64ELb0Ell21rocsparse_complex_numIdEEEvT3_NS_24const_host_device_scalarIT4_EEPKT2_PKS3_PKS5_SD_lPS5_PiSB_iPS3_21rocsparse_index_base_20rocsparse_fill_mode_20rocsparse_diag_type_b.has_recursion, 0
	.set _ZN9rocsparseL12csrsv_kernelILj1024ELj64ELb0Ell21rocsparse_complex_numIdEEEvT3_NS_24const_host_device_scalarIT4_EEPKT2_PKS3_PKS5_SD_lPS5_PiSB_iPS3_21rocsparse_index_base_20rocsparse_fill_mode_20rocsparse_diag_type_b.has_indirect_call, 0
	.section	.AMDGPU.csdata,"",@progbits
; Kernel info:
; codeLenInByte = 2120
; TotalNumSgprs: 36
; NumVgprs: 24
; ScratchSize: 16
; MemoryBound: 0
; FloatMode: 240
; IeeeMode: 1
; LDSByteSize: 256 bytes/workgroup (compile time only)
; SGPRBlocks: 0
; VGPRBlocks: 2
; NumSGPRsForWavesPerEU: 36
; NumVGPRsForWavesPerEU: 24
; Occupancy: 16
; WaveLimiterHint : 1
; COMPUTE_PGM_RSRC2:SCRATCH_EN: 1
; COMPUTE_PGM_RSRC2:USER_SGPR: 8
; COMPUTE_PGM_RSRC2:TRAP_HANDLER: 0
; COMPUTE_PGM_RSRC2:TGID_X_EN: 1
; COMPUTE_PGM_RSRC2:TGID_Y_EN: 0
; COMPUTE_PGM_RSRC2:TGID_Z_EN: 0
; COMPUTE_PGM_RSRC2:TIDIG_COMP_CNT: 0
	.section	.text._ZN9rocsparseL12csrsv_kernelILj1024ELj64ELb1EilfEEvT3_NS_24const_host_device_scalarIT4_EEPKT2_PKS1_PKS3_SB_lPS3_PiS9_iPS1_21rocsparse_index_base_20rocsparse_fill_mode_20rocsparse_diag_type_b,"axG",@progbits,_ZN9rocsparseL12csrsv_kernelILj1024ELj64ELb1EilfEEvT3_NS_24const_host_device_scalarIT4_EEPKT2_PKS1_PKS3_SB_lPS3_PiS9_iPS1_21rocsparse_index_base_20rocsparse_fill_mode_20rocsparse_diag_type_b,comdat
	.globl	_ZN9rocsparseL12csrsv_kernelILj1024ELj64ELb1EilfEEvT3_NS_24const_host_device_scalarIT4_EEPKT2_PKS1_PKS3_SB_lPS3_PiS9_iPS1_21rocsparse_index_base_20rocsparse_fill_mode_20rocsparse_diag_type_b ; -- Begin function _ZN9rocsparseL12csrsv_kernelILj1024ELj64ELb1EilfEEvT3_NS_24const_host_device_scalarIT4_EEPKT2_PKS1_PKS3_SB_lPS3_PiS9_iPS1_21rocsparse_index_base_20rocsparse_fill_mode_20rocsparse_diag_type_b
	.p2align	8
	.type	_ZN9rocsparseL12csrsv_kernelILj1024ELj64ELb1EilfEEvT3_NS_24const_host_device_scalarIT4_EEPKT2_PKS1_PKS3_SB_lPS3_PiS9_iPS1_21rocsparse_index_base_20rocsparse_fill_mode_20rocsparse_diag_type_b,@function
_ZN9rocsparseL12csrsv_kernelILj1024ELj64ELb1EilfEEvT3_NS_24const_host_device_scalarIT4_EEPKT2_PKS1_PKS3_SB_lPS3_PiS9_iPS1_21rocsparse_index_base_20rocsparse_fill_mode_20rocsparse_diag_type_b: ; @_ZN9rocsparseL12csrsv_kernelILj1024ELj64ELb1EilfEEvT3_NS_24const_host_device_scalarIT4_EEPKT2_PKS1_PKS3_SB_lPS3_PiS9_iPS1_21rocsparse_index_base_20rocsparse_fill_mode_20rocsparse_diag_type_b
; %bb.0:
	s_clause 0x1
	s_load_dwordx4 s[8:11], s[4:5], 0x60
	s_load_dwordx4 s[0:3], s[4:5], 0x0
	s_waitcnt lgkmcnt(0)
	s_bitcmp1_b32 s11, 0
	s_cselect_b32 s7, -1, 0
	s_and_b32 vcc_lo, exec_lo, s7
	s_cbranch_vccnz .LBB36_2
; %bb.1:
	s_load_dword s2, s[2:3], 0x0
.LBB36_2:
	v_readfirstlane_b32 s3, v0
	s_lshl_b32 s6, s6, 4
	s_mov_b32 s7, 0
	s_lshr_b32 s11, s3, 6
	s_add_i32 s6, s11, s6
	v_cmp_le_i64_e64 s0, s[0:1], s[6:7]
	s_and_b32 vcc_lo, exec_lo, s0
	s_cbranch_vccnz .LBB36_49
; %bb.3:
	s_clause 0x1
	s_load_dword s0, s[4:5], 0x50
	s_load_dwordx2 s[12:13], s[4:5], 0x48
	s_lshl_b64 s[6:7], s[6:7], 3
	v_and_b32_e32 v5, 63, v0
	v_mov_b32_e32 v6, 0
	s_waitcnt lgkmcnt(0)
	s_ashr_i32 s1, s0, 31
	s_add_u32 s3, s12, s6
	s_addc_u32 s6, s13, s7
	s_lshl_b64 s[0:1], s[0:1], 3
	s_add_u32 s0, s3, s0
	s_addc_u32 s1, s6, s1
	s_load_dwordx2 s[18:19], s[0:1], 0x0
	s_load_dwordx2 s[0:1], s[4:5], 0x10
	s_mov_b32 s3, exec_lo
	s_waitcnt lgkmcnt(0)
	s_lshl_b64 s[16:17], s[18:19], 2
	s_add_u32 s0, s0, s16
	s_addc_u32 s1, s1, s17
	s_load_dwordx4 s[12:15], s[4:5], 0x38
	s_load_dwordx2 s[0:1], s[0:1], 0x0
	v_cmpx_eq_u32_e32 0, v5
	s_cbranch_execz .LBB36_5
; %bb.4:
	s_load_dwordx4 s[20:23], s[4:5], 0x28
	s_waitcnt lgkmcnt(0)
	s_mul_i32 s6, s18, s23
	s_mul_hi_u32 s7, s18, s22
	s_mul_i32 s23, s19, s22
	s_add_i32 s6, s7, s6
	s_add_i32 s7, s6, s23
	s_mul_i32 s6, s18, s22
	s_lshl_b64 s[6:7], s[6:7], 2
	s_add_u32 s6, s20, s6
	s_addc_u32 s7, s21, s7
	s_load_dword s6, s[6:7], 0x0
	s_waitcnt lgkmcnt(0)
	v_mul_f32_e64 v6, s2, s6
.LBB36_5:
	s_or_b32 exec_lo, exec_lo, s3
	v_subrev_nc_u32_e32 v0, s8, v5
	s_waitcnt lgkmcnt(0)
	s_sub_i32 s23, s1, s8
	s_mov_b32 s22, exec_lo
	v_add_nc_u32_e32 v0, s0, v0
	v_cmpx_gt_i32_e64 s23, v0
	s_cbranch_execz .LBB36_45
; %bb.6:
	s_clause 0x1
	s_load_dwordx2 s[2:3], s[4:5], 0x58
	s_load_dwordx4 s[4:7], s[4:5], 0x18
	s_cmp_eq_u32 s10, 0
	v_mov_b32_e32 v7, 0
	s_cselect_b32 s25, -1, 0
	s_add_u32 s20, s18, s8
	s_mov_b32 s24, 0
	s_addc_u32 s21, s19, 0
	s_lshl_b32 s26, s11, 2
	s_branch .LBB36_8
.LBB36_7:                               ;   in Loop: Header=BB36_8 Depth=1
	s_or_b32 exec_lo, exec_lo, s27
	s_and_b32 s0, exec_lo, s0
	s_or_b32 s24, s0, s24
	s_andn2_b32 exec_lo, exec_lo, s24
	s_cbranch_execz .LBB36_44
.LBB36_8:                               ; =>This Loop Header: Depth=1
                                        ;     Child Loop BB36_26 Depth 2
                                        ;       Child Loop BB36_27 Depth 3
	v_ashrrev_i32_e32 v1, 31, v0
	v_lshlrev_b64 v[2:3], 3, v[0:1]
	v_lshlrev_b64 v[8:9], 2, v[0:1]
	s_waitcnt lgkmcnt(0)
	v_add_co_u32 v2, vcc_lo, s4, v2
	v_add_co_ci_u32_e64 v3, null, s5, v3, vcc_lo
	global_load_dwordx2 v[1:2], v[2:3], off slc
	v_add_co_u32 v3, vcc_lo, s6, v8
	v_add_co_ci_u32_e64 v4, null, s7, v9, vcc_lo
	global_load_dword v8, v[3:4], off slc
	s_waitcnt vmcnt(1)
	v_sub_co_u32 v1, vcc_lo, v1, s8
	v_subrev_co_ci_u32_e64 v2, null, 0, v2, vcc_lo
	v_cmp_eq_u64_e32 vcc_lo, s[18:19], v[1:2]
	s_waitcnt vmcnt(0)
	v_cmp_eq_f32_e64 s1, 0, v8
	v_cmp_ne_u64_e64 s0, s[18:19], v[1:2]
	s_and_b32 s27, s25, vcc_lo
	s_and_b32 s1, s1, s27
	s_and_saveexec_b32 s27, s1
	s_cbranch_execz .LBB36_12
; %bb.9:                                ;   in Loop: Header=BB36_8 Depth=1
	v_mbcnt_lo_u32_b32 v3, exec_lo, 0
	s_mov_b32 s28, exec_lo
	v_cmpx_eq_u32_e32 0, v3
	s_cbranch_execz .LBB36_11
; %bb.10:                               ;   in Loop: Header=BB36_8 Depth=1
	v_mov_b32_e32 v3, s20
	v_mov_b32_e32 v4, s21
	global_atomic_umin_x2 v7, v[3:4], s[2:3]
.LBB36_11:                              ;   in Loop: Header=BB36_8 Depth=1
	s_or_b32 exec_lo, exec_lo, s28
	v_mov_b32_e32 v8, 1.0
.LBB36_12:                              ;   in Loop: Header=BB36_8 Depth=1
	s_or_b32 exec_lo, exec_lo, s27
	s_mov_b32 s1, -1
	s_mov_b32 s27, 0
	s_cmp_lt_i32 s9, 1
	s_mov_b32 s28, 0
	s_cbranch_scc1 .LBB36_28
; %bb.13:                               ;   in Loop: Header=BB36_8 Depth=1
	s_cmp_eq_u32 s9, 1
	s_mov_b32 s28, -1
	s_cbranch_scc0 .LBB36_21
; %bb.14:                               ;   in Loop: Header=BB36_8 Depth=1
	s_mov_b32 s28, 0
	s_mov_b32 s29, exec_lo
	v_cmpx_le_i64_e64 s[18:19], v[1:2]
	s_cbranch_execz .LBB36_20
; %bb.15:                               ;   in Loop: Header=BB36_8 Depth=1
	s_mov_b32 s28, -1
	s_and_saveexec_b32 s1, vcc_lo
	s_xor_b32 s1, exec_lo, s1
	s_cbranch_execz .LBB36_19
; %bb.16:                               ;   in Loop: Header=BB36_8 Depth=1
	s_andn2_b32 vcc_lo, exec_lo, s25
	s_cbranch_vccnz .LBB36_18
; %bb.17:                               ;   in Loop: Header=BB36_8 Depth=1
	v_div_scale_f32 v3, null, v8, v8, 1.0
	v_div_scale_f32 v10, vcc_lo, 1.0, v8, 1.0
	v_rcp_f32_e32 v4, v3
	v_fma_f32 v9, -v3, v4, 1.0
	v_fmac_f32_e32 v4, v9, v4
	v_mul_f32_e32 v9, v10, v4
	v_fma_f32 v11, -v3, v9, v10
	v_fmac_f32_e32 v9, v11, v4
	v_fma_f32 v3, -v3, v9, v10
	v_div_fmas_f32 v3, v3, v4, v9
	v_mov_b32_e32 v4, s26
	v_div_fixup_f32 v3, v3, v8, 1.0
	ds_write_b32 v4, v3
.LBB36_18:                              ;   in Loop: Header=BB36_8 Depth=1
	s_xor_b32 s28, exec_lo, -1
.LBB36_19:                              ;   in Loop: Header=BB36_8 Depth=1
	s_or_b32 exec_lo, exec_lo, s1
	s_and_b32 s28, s28, exec_lo
.LBB36_20:                              ;   in Loop: Header=BB36_8 Depth=1
	s_or_b32 exec_lo, exec_lo, s29
.LBB36_21:                              ;   in Loop: Header=BB36_8 Depth=1
	s_mov_b32 s1, 4
.LBB36_22:                              ;   in Loop: Header=BB36_8 Depth=1
	v_mov_b32_e32 v3, s1
	v_mov_b32_e32 v4, v6
	s_and_saveexec_b32 s0, s28
	s_cbranch_execz .LBB36_36
.LBB36_23:                              ;   in Loop: Header=BB36_8 Depth=1
	v_lshlrev_b64 v[1:2], 2, v[1:2]
	s_mov_b32 s1, exec_lo
	v_add_co_u32 v3, vcc_lo, s14, v1
	v_add_co_ci_u32_e64 v4, null, s15, v2, vcc_lo
	global_load_dword v9, v[3:4], off glc dlc
	s_waitcnt vmcnt(0)
	v_cmpx_eq_u32_e32 0, v9
	s_cbranch_execz .LBB36_31
; %bb.24:                               ;   in Loop: Header=BB36_8 Depth=1
	s_mov_b32 s28, 0
	s_mov_b32 s29, 0
	s_branch .LBB36_26
	.p2align	6
.LBB36_25:                              ;   in Loop: Header=BB36_26 Depth=2
	global_load_dword v9, v[3:4], off glc dlc
	s_cmpk_lt_u32 s29, 0xf43
	s_cselect_b32 s30, -1, 0
	s_cmp_lg_u32 s30, 0
	s_addc_u32 s29, s29, 0
	s_waitcnt vmcnt(0)
	v_cmp_ne_u32_e32 vcc_lo, 0, v9
	s_or_b32 s28, vcc_lo, s28
	s_andn2_b32 exec_lo, exec_lo, s28
	s_cbranch_execz .LBB36_31
.LBB36_26:                              ;   Parent Loop BB36_8 Depth=1
                                        ; =>  This Loop Header: Depth=2
                                        ;       Child Loop BB36_27 Depth 3
	s_cmp_eq_u32 s29, 0
	s_mov_b32 s30, s29
	s_cbranch_scc1 .LBB36_25
.LBB36_27:                              ;   Parent Loop BB36_8 Depth=1
                                        ;     Parent Loop BB36_26 Depth=2
                                        ; =>    This Inner Loop Header: Depth=3
	s_add_i32 s30, s30, -1
	s_sleep 1
	s_cmp_eq_u32 s30, 0
	s_cbranch_scc0 .LBB36_27
	s_branch .LBB36_25
.LBB36_28:                              ;   in Loop: Header=BB36_8 Depth=1
	s_and_b32 vcc_lo, exec_lo, s1
	s_mov_b32 s1, 4
	s_cbranch_vccz .LBB36_22
; %bb.29:                               ;   in Loop: Header=BB36_8 Depth=1
	s_cmp_eq_u32 s9, 0
	s_cbranch_scc1 .LBB36_32
; %bb.30:                               ;   in Loop: Header=BB36_8 Depth=1
	s_mov_b32 s28, -1
	s_branch .LBB36_35
.LBB36_31:                              ;   in Loop: Header=BB36_8 Depth=1
	s_or_b32 exec_lo, exec_lo, s1
	v_add_co_u32 v1, vcc_lo, s12, v1
	v_add_co_ci_u32_e64 v2, null, s13, v2, vcc_lo
	s_waitcnt lgkmcnt(0)
	s_waitcnt_vscnt null, 0x0
	buffer_gl1_inv
	buffer_gl0_inv
	v_mov_b32_e32 v3, 0
	s_andn2_b32 s27, s27, exec_lo
	global_load_dword v1, v[1:2], off
	s_waitcnt vmcnt(0)
	v_fma_f32 v4, -v8, v1, v6
	s_or_b32 exec_lo, exec_lo, s0
	s_and_saveexec_b32 s0, s27
	s_cbranch_execz .LBB36_40
	s_branch .LBB36_37
.LBB36_32:                              ;   in Loop: Header=BB36_8 Depth=1
	s_mov_b32 s28, 0
	s_mov_b32 s1, exec_lo
	v_cmpx_ge_i64_e64 s[18:19], v[1:2]
; %bb.33:                               ;   in Loop: Header=BB36_8 Depth=1
	s_mov_b32 s27, exec_lo
	s_and_b32 s28, s0, exec_lo
; %bb.34:                               ;   in Loop: Header=BB36_8 Depth=1
	s_or_b32 exec_lo, exec_lo, s1
.LBB36_35:                              ;   in Loop: Header=BB36_8 Depth=1
	s_mov_b32 s1, 2
	v_mov_b32_e32 v3, s1
	v_mov_b32_e32 v4, v6
	s_and_saveexec_b32 s0, s28
	s_cbranch_execnz .LBB36_23
.LBB36_36:                              ;   in Loop: Header=BB36_8 Depth=1
	s_or_b32 exec_lo, exec_lo, s0
	s_and_saveexec_b32 s0, s27
	s_cbranch_execz .LBB36_40
.LBB36_37:                              ;   in Loop: Header=BB36_8 Depth=1
	s_andn2_b32 vcc_lo, exec_lo, s25
	s_cbranch_vccnz .LBB36_39
; %bb.38:                               ;   in Loop: Header=BB36_8 Depth=1
	v_div_scale_f32 v1, null, v8, v8, 1.0
	v_div_scale_f32 v4, vcc_lo, 1.0, v8, 1.0
	v_rcp_f32_e32 v2, v1
	v_fma_f32 v3, -v1, v2, 1.0
	v_fmac_f32_e32 v2, v3, v2
	v_mul_f32_e32 v3, v4, v2
	v_fma_f32 v9, -v1, v3, v4
	v_fmac_f32_e32 v3, v9, v2
	v_fma_f32 v1, -v1, v3, v4
	v_div_fmas_f32 v1, v1, v2, v3
	v_mov_b32_e32 v2, s26
	v_div_fixup_f32 v1, v1, v8, 1.0
	ds_write_b32 v2, v1
.LBB36_39:                              ;   in Loop: Header=BB36_8 Depth=1
	v_mov_b32_e32 v3, 2
	v_mov_b32_e32 v4, v6
.LBB36_40:                              ;   in Loop: Header=BB36_8 Depth=1
	s_or_b32 exec_lo, exec_lo, s0
	v_mov_b32_e32 v6, v4
	s_mov_b32 s0, -1
	s_mov_b32 s1, -1
	s_mov_b32 s27, exec_lo
	v_cmpx_gt_i32_e32 4, v3
; %bb.41:                               ;   in Loop: Header=BB36_8 Depth=1
	v_cmp_eq_u32_e32 vcc_lo, 0, v3
	s_orn2_b32 s1, vcc_lo, exec_lo
; %bb.42:                               ;   in Loop: Header=BB36_8 Depth=1
	s_or_b32 exec_lo, exec_lo, s27
	s_and_saveexec_b32 s27, s1
	s_cbranch_execz .LBB36_7
; %bb.43:                               ;   in Loop: Header=BB36_8 Depth=1
	v_add_nc_u32_e32 v0, 64, v0
	v_cmp_le_i32_e32 vcc_lo, s23, v0
	s_orn2_b32 s0, vcc_lo, exec_lo
	s_branch .LBB36_7
.LBB36_44:
	s_or_b32 exec_lo, exec_lo, s24
.LBB36_45:
	s_or_b32 exec_lo, exec_lo, s22
	v_mbcnt_lo_u32_b32 v0, -1, 0
	s_cmp_lg_u32 s10, 0
	v_or_b32_e32 v1, 32, v0
	v_xor_b32_e32 v2, 16, v0
	v_xor_b32_e32 v3, 8, v0
	v_cmp_gt_i32_e32 vcc_lo, 32, v1
	v_cndmask_b32_e32 v1, v0, v1, vcc_lo
	v_cmp_gt_i32_e32 vcc_lo, 32, v2
	v_lshlrev_b32_e32 v1, 2, v1
	v_cndmask_b32_e32 v2, v0, v2, vcc_lo
	v_cmp_gt_i32_e32 vcc_lo, 32, v3
	ds_bpermute_b32 v1, v1, v6
	v_lshlrev_b32_e32 v2, 2, v2
	v_cndmask_b32_e32 v3, v0, v3, vcc_lo
	v_lshlrev_b32_e32 v3, 2, v3
	s_waitcnt lgkmcnt(0)
	v_add_f32_e32 v1, v6, v1
	ds_bpermute_b32 v2, v2, v1
	s_waitcnt lgkmcnt(0)
	v_add_f32_e32 v1, v1, v2
	ds_bpermute_b32 v2, v3, v1
	v_xor_b32_e32 v3, 4, v0
	v_cmp_gt_i32_e32 vcc_lo, 32, v3
	v_cndmask_b32_e32 v3, v0, v3, vcc_lo
	v_lshlrev_b32_e32 v3, 2, v3
	s_waitcnt lgkmcnt(0)
	v_add_f32_e32 v1, v1, v2
	ds_bpermute_b32 v2, v3, v1
	v_xor_b32_e32 v3, 2, v0
	v_cmp_gt_i32_e32 vcc_lo, 32, v3
	v_cndmask_b32_e32 v3, v0, v3, vcc_lo
	v_lshlrev_b32_e32 v3, 2, v3
	;; [unrolled: 7-line block ×3, first 2 shown]
	s_waitcnt lgkmcnt(0)
	v_add_f32_e32 v1, v1, v2
	ds_bpermute_b32 v0, v0, v1
	s_waitcnt lgkmcnt(0)
	v_add_f32_e32 v0, v1, v0
	s_cbranch_scc1 .LBB36_47
; %bb.46:
	s_lshl_b32 s0, s11, 2
	s_waitcnt_vscnt null, 0x0
	buffer_gl0_inv
	v_mov_b32_e32 v1, s0
	ds_read_b32 v1, v1
	s_waitcnt lgkmcnt(0)
	v_mul_f32_e32 v0, v0, v1
.LBB36_47:
	s_mov_b32 s0, exec_lo
	v_cmpx_eq_u32_e32 63, v5
	s_cbranch_execz .LBB36_49
; %bb.48:
	v_mov_b32_e32 v1, 0
	s_add_u32 s0, s12, s16
	v_mov_b32_e32 v2, 1
	s_addc_u32 s1, s13, s17
	s_add_u32 s2, s14, s16
	s_addc_u32 s3, s15, s17
	global_store_dword v1, v0, s[0:1] glc slc
	s_waitcnt_vscnt null, 0x0
	global_store_dword v1, v2, s[2:3]
.LBB36_49:
	s_endpgm
	.section	.rodata,"a",@progbits
	.p2align	6, 0x0
	.amdhsa_kernel _ZN9rocsparseL12csrsv_kernelILj1024ELj64ELb1EilfEEvT3_NS_24const_host_device_scalarIT4_EEPKT2_PKS1_PKS3_SB_lPS3_PiS9_iPS1_21rocsparse_index_base_20rocsparse_fill_mode_20rocsparse_diag_type_b
		.amdhsa_group_segment_fixed_size 64
		.amdhsa_private_segment_fixed_size 0
		.amdhsa_kernarg_size 112
		.amdhsa_user_sgpr_count 6
		.amdhsa_user_sgpr_private_segment_buffer 1
		.amdhsa_user_sgpr_dispatch_ptr 0
		.amdhsa_user_sgpr_queue_ptr 0
		.amdhsa_user_sgpr_kernarg_segment_ptr 1
		.amdhsa_user_sgpr_dispatch_id 0
		.amdhsa_user_sgpr_flat_scratch_init 0
		.amdhsa_user_sgpr_private_segment_size 0
		.amdhsa_wavefront_size32 1
		.amdhsa_uses_dynamic_stack 0
		.amdhsa_system_sgpr_private_segment_wavefront_offset 0
		.amdhsa_system_sgpr_workgroup_id_x 1
		.amdhsa_system_sgpr_workgroup_id_y 0
		.amdhsa_system_sgpr_workgroup_id_z 0
		.amdhsa_system_sgpr_workgroup_info 0
		.amdhsa_system_vgpr_workitem_id 0
		.amdhsa_next_free_vgpr 12
		.amdhsa_next_free_sgpr 31
		.amdhsa_reserve_vcc 1
		.amdhsa_reserve_flat_scratch 0
		.amdhsa_float_round_mode_32 0
		.amdhsa_float_round_mode_16_64 0
		.amdhsa_float_denorm_mode_32 3
		.amdhsa_float_denorm_mode_16_64 3
		.amdhsa_dx10_clamp 1
		.amdhsa_ieee_mode 1
		.amdhsa_fp16_overflow 0
		.amdhsa_workgroup_processor_mode 1
		.amdhsa_memory_ordered 1
		.amdhsa_forward_progress 1
		.amdhsa_shared_vgpr_count 0
		.amdhsa_exception_fp_ieee_invalid_op 0
		.amdhsa_exception_fp_denorm_src 0
		.amdhsa_exception_fp_ieee_div_zero 0
		.amdhsa_exception_fp_ieee_overflow 0
		.amdhsa_exception_fp_ieee_underflow 0
		.amdhsa_exception_fp_ieee_inexact 0
		.amdhsa_exception_int_div_zero 0
	.end_amdhsa_kernel
	.section	.text._ZN9rocsparseL12csrsv_kernelILj1024ELj64ELb1EilfEEvT3_NS_24const_host_device_scalarIT4_EEPKT2_PKS1_PKS3_SB_lPS3_PiS9_iPS1_21rocsparse_index_base_20rocsparse_fill_mode_20rocsparse_diag_type_b,"axG",@progbits,_ZN9rocsparseL12csrsv_kernelILj1024ELj64ELb1EilfEEvT3_NS_24const_host_device_scalarIT4_EEPKT2_PKS1_PKS3_SB_lPS3_PiS9_iPS1_21rocsparse_index_base_20rocsparse_fill_mode_20rocsparse_diag_type_b,comdat
.Lfunc_end36:
	.size	_ZN9rocsparseL12csrsv_kernelILj1024ELj64ELb1EilfEEvT3_NS_24const_host_device_scalarIT4_EEPKT2_PKS1_PKS3_SB_lPS3_PiS9_iPS1_21rocsparse_index_base_20rocsparse_fill_mode_20rocsparse_diag_type_b, .Lfunc_end36-_ZN9rocsparseL12csrsv_kernelILj1024ELj64ELb1EilfEEvT3_NS_24const_host_device_scalarIT4_EEPKT2_PKS1_PKS3_SB_lPS3_PiS9_iPS1_21rocsparse_index_base_20rocsparse_fill_mode_20rocsparse_diag_type_b
                                        ; -- End function
	.set _ZN9rocsparseL12csrsv_kernelILj1024ELj64ELb1EilfEEvT3_NS_24const_host_device_scalarIT4_EEPKT2_PKS1_PKS3_SB_lPS3_PiS9_iPS1_21rocsparse_index_base_20rocsparse_fill_mode_20rocsparse_diag_type_b.num_vgpr, 12
	.set _ZN9rocsparseL12csrsv_kernelILj1024ELj64ELb1EilfEEvT3_NS_24const_host_device_scalarIT4_EEPKT2_PKS1_PKS3_SB_lPS3_PiS9_iPS1_21rocsparse_index_base_20rocsparse_fill_mode_20rocsparse_diag_type_b.num_agpr, 0
	.set _ZN9rocsparseL12csrsv_kernelILj1024ELj64ELb1EilfEEvT3_NS_24const_host_device_scalarIT4_EEPKT2_PKS1_PKS3_SB_lPS3_PiS9_iPS1_21rocsparse_index_base_20rocsparse_fill_mode_20rocsparse_diag_type_b.numbered_sgpr, 31
	.set _ZN9rocsparseL12csrsv_kernelILj1024ELj64ELb1EilfEEvT3_NS_24const_host_device_scalarIT4_EEPKT2_PKS1_PKS3_SB_lPS3_PiS9_iPS1_21rocsparse_index_base_20rocsparse_fill_mode_20rocsparse_diag_type_b.num_named_barrier, 0
	.set _ZN9rocsparseL12csrsv_kernelILj1024ELj64ELb1EilfEEvT3_NS_24const_host_device_scalarIT4_EEPKT2_PKS1_PKS3_SB_lPS3_PiS9_iPS1_21rocsparse_index_base_20rocsparse_fill_mode_20rocsparse_diag_type_b.private_seg_size, 0
	.set _ZN9rocsparseL12csrsv_kernelILj1024ELj64ELb1EilfEEvT3_NS_24const_host_device_scalarIT4_EEPKT2_PKS1_PKS3_SB_lPS3_PiS9_iPS1_21rocsparse_index_base_20rocsparse_fill_mode_20rocsparse_diag_type_b.uses_vcc, 1
	.set _ZN9rocsparseL12csrsv_kernelILj1024ELj64ELb1EilfEEvT3_NS_24const_host_device_scalarIT4_EEPKT2_PKS1_PKS3_SB_lPS3_PiS9_iPS1_21rocsparse_index_base_20rocsparse_fill_mode_20rocsparse_diag_type_b.uses_flat_scratch, 0
	.set _ZN9rocsparseL12csrsv_kernelILj1024ELj64ELb1EilfEEvT3_NS_24const_host_device_scalarIT4_EEPKT2_PKS1_PKS3_SB_lPS3_PiS9_iPS1_21rocsparse_index_base_20rocsparse_fill_mode_20rocsparse_diag_type_b.has_dyn_sized_stack, 0
	.set _ZN9rocsparseL12csrsv_kernelILj1024ELj64ELb1EilfEEvT3_NS_24const_host_device_scalarIT4_EEPKT2_PKS1_PKS3_SB_lPS3_PiS9_iPS1_21rocsparse_index_base_20rocsparse_fill_mode_20rocsparse_diag_type_b.has_recursion, 0
	.set _ZN9rocsparseL12csrsv_kernelILj1024ELj64ELb1EilfEEvT3_NS_24const_host_device_scalarIT4_EEPKT2_PKS1_PKS3_SB_lPS3_PiS9_iPS1_21rocsparse_index_base_20rocsparse_fill_mode_20rocsparse_diag_type_b.has_indirect_call, 0
	.section	.AMDGPU.csdata,"",@progbits
; Kernel info:
; codeLenInByte = 1556
; TotalNumSgprs: 33
; NumVgprs: 12
; ScratchSize: 0
; MemoryBound: 0
; FloatMode: 240
; IeeeMode: 1
; LDSByteSize: 64 bytes/workgroup (compile time only)
; SGPRBlocks: 0
; VGPRBlocks: 1
; NumSGPRsForWavesPerEU: 33
; NumVGPRsForWavesPerEU: 12
; Occupancy: 16
; WaveLimiterHint : 1
; COMPUTE_PGM_RSRC2:SCRATCH_EN: 0
; COMPUTE_PGM_RSRC2:USER_SGPR: 6
; COMPUTE_PGM_RSRC2:TRAP_HANDLER: 0
; COMPUTE_PGM_RSRC2:TGID_X_EN: 1
; COMPUTE_PGM_RSRC2:TGID_Y_EN: 0
; COMPUTE_PGM_RSRC2:TGID_Z_EN: 0
; COMPUTE_PGM_RSRC2:TIDIG_COMP_CNT: 0
	.section	.text._ZN9rocsparseL12csrsv_kernelILj1024ELj32ELb0EilfEEvT3_NS_24const_host_device_scalarIT4_EEPKT2_PKS1_PKS3_SB_lPS3_PiS9_iPS1_21rocsparse_index_base_20rocsparse_fill_mode_20rocsparse_diag_type_b,"axG",@progbits,_ZN9rocsparseL12csrsv_kernelILj1024ELj32ELb0EilfEEvT3_NS_24const_host_device_scalarIT4_EEPKT2_PKS1_PKS3_SB_lPS3_PiS9_iPS1_21rocsparse_index_base_20rocsparse_fill_mode_20rocsparse_diag_type_b,comdat
	.globl	_ZN9rocsparseL12csrsv_kernelILj1024ELj32ELb0EilfEEvT3_NS_24const_host_device_scalarIT4_EEPKT2_PKS1_PKS3_SB_lPS3_PiS9_iPS1_21rocsparse_index_base_20rocsparse_fill_mode_20rocsparse_diag_type_b ; -- Begin function _ZN9rocsparseL12csrsv_kernelILj1024ELj32ELb0EilfEEvT3_NS_24const_host_device_scalarIT4_EEPKT2_PKS1_PKS3_SB_lPS3_PiS9_iPS1_21rocsparse_index_base_20rocsparse_fill_mode_20rocsparse_diag_type_b
	.p2align	8
	.type	_ZN9rocsparseL12csrsv_kernelILj1024ELj32ELb0EilfEEvT3_NS_24const_host_device_scalarIT4_EEPKT2_PKS1_PKS3_SB_lPS3_PiS9_iPS1_21rocsparse_index_base_20rocsparse_fill_mode_20rocsparse_diag_type_b,@function
_ZN9rocsparseL12csrsv_kernelILj1024ELj32ELb0EilfEEvT3_NS_24const_host_device_scalarIT4_EEPKT2_PKS1_PKS3_SB_lPS3_PiS9_iPS1_21rocsparse_index_base_20rocsparse_fill_mode_20rocsparse_diag_type_b: ; @_ZN9rocsparseL12csrsv_kernelILj1024ELj32ELb0EilfEEvT3_NS_24const_host_device_scalarIT4_EEPKT2_PKS1_PKS3_SB_lPS3_PiS9_iPS1_21rocsparse_index_base_20rocsparse_fill_mode_20rocsparse_diag_type_b
; %bb.0:
	s_clause 0x1
	s_load_dwordx4 s[8:11], s[4:5], 0x60
	s_load_dwordx4 s[0:3], s[4:5], 0x0
	s_waitcnt lgkmcnt(0)
	s_bitcmp1_b32 s11, 0
	s_cselect_b32 s7, -1, 0
	s_and_b32 vcc_lo, exec_lo, s7
	s_cbranch_vccnz .LBB37_2
; %bb.1:
	s_load_dword s2, s[2:3], 0x0
.LBB37_2:
	v_readfirstlane_b32 s3, v0
	s_lshl_b32 s6, s6, 5
	s_mov_b32 s7, 0
	s_lshr_b32 s11, s3, 5
	s_add_i32 s6, s11, s6
	v_cmp_le_i64_e64 s0, s[0:1], s[6:7]
	s_and_b32 vcc_lo, exec_lo, s0
	s_cbranch_vccnz .LBB37_47
; %bb.3:
	s_clause 0x1
	s_load_dword s0, s[4:5], 0x50
	s_load_dwordx2 s[12:13], s[4:5], 0x48
	s_lshl_b64 s[6:7], s[6:7], 3
	v_and_b32_e32 v5, 31, v0
	v_mov_b32_e32 v6, 0
	s_waitcnt lgkmcnt(0)
	s_ashr_i32 s1, s0, 31
	s_add_u32 s3, s12, s6
	s_addc_u32 s6, s13, s7
	s_lshl_b64 s[0:1], s[0:1], 3
	s_add_u32 s0, s3, s0
	s_addc_u32 s1, s6, s1
	s_load_dwordx2 s[18:19], s[0:1], 0x0
	s_load_dwordx2 s[0:1], s[4:5], 0x10
	s_mov_b32 s3, exec_lo
	s_waitcnt lgkmcnt(0)
	s_lshl_b64 s[16:17], s[18:19], 2
	s_add_u32 s0, s0, s16
	s_addc_u32 s1, s1, s17
	s_load_dwordx4 s[12:15], s[4:5], 0x38
	s_load_dwordx2 s[0:1], s[0:1], 0x0
	v_cmpx_eq_u32_e32 0, v5
	s_cbranch_execz .LBB37_5
; %bb.4:
	s_load_dwordx4 s[20:23], s[4:5], 0x28
	s_waitcnt lgkmcnt(0)
	s_mul_i32 s6, s18, s23
	s_mul_hi_u32 s7, s18, s22
	s_mul_i32 s23, s19, s22
	s_add_i32 s6, s7, s6
	s_add_i32 s7, s6, s23
	s_mul_i32 s6, s18, s22
	s_lshl_b64 s[6:7], s[6:7], 2
	s_add_u32 s6, s20, s6
	s_addc_u32 s7, s21, s7
	s_load_dword s6, s[6:7], 0x0
	s_waitcnt lgkmcnt(0)
	v_mul_f32_e64 v6, s2, s6
.LBB37_5:
	s_or_b32 exec_lo, exec_lo, s3
	v_subrev_nc_u32_e32 v0, s8, v5
	s_waitcnt lgkmcnt(0)
	s_sub_i32 s23, s1, s8
	s_mov_b32 s22, exec_lo
	v_add_nc_u32_e32 v0, s0, v0
	v_cmpx_gt_i32_e64 s23, v0
	s_cbranch_execz .LBB37_43
; %bb.6:
	s_clause 0x1
	s_load_dwordx2 s[2:3], s[4:5], 0x58
	s_load_dwordx4 s[4:7], s[4:5], 0x18
	s_cmp_eq_u32 s10, 0
	v_mov_b32_e32 v7, 0
	s_cselect_b32 s25, -1, 0
	s_add_u32 s20, s18, s8
	s_mov_b32 s24, 0
	s_addc_u32 s21, s19, 0
	s_lshl_b32 s26, s11, 2
	s_branch .LBB37_8
.LBB37_7:                               ;   in Loop: Header=BB37_8 Depth=1
	s_or_b32 exec_lo, exec_lo, s27
	s_and_b32 s0, exec_lo, s0
	s_or_b32 s24, s0, s24
	s_andn2_b32 exec_lo, exec_lo, s24
	s_cbranch_execz .LBB37_42
.LBB37_8:                               ; =>This Loop Header: Depth=1
                                        ;     Child Loop BB37_25 Depth 2
	v_ashrrev_i32_e32 v1, 31, v0
	v_lshlrev_b64 v[2:3], 3, v[0:1]
	v_lshlrev_b64 v[8:9], 2, v[0:1]
	s_waitcnt lgkmcnt(0)
	v_add_co_u32 v2, vcc_lo, s4, v2
	v_add_co_ci_u32_e64 v3, null, s5, v3, vcc_lo
	global_load_dwordx2 v[1:2], v[2:3], off slc
	v_add_co_u32 v3, vcc_lo, s6, v8
	v_add_co_ci_u32_e64 v4, null, s7, v9, vcc_lo
	global_load_dword v8, v[3:4], off slc
	s_waitcnt vmcnt(1)
	v_sub_co_u32 v1, vcc_lo, v1, s8
	v_subrev_co_ci_u32_e64 v2, null, 0, v2, vcc_lo
	v_cmp_eq_u64_e32 vcc_lo, s[18:19], v[1:2]
	s_waitcnt vmcnt(0)
	v_cmp_eq_f32_e64 s1, 0, v8
	v_cmp_ne_u64_e64 s0, s[18:19], v[1:2]
	s_and_b32 s27, s25, vcc_lo
	s_and_b32 s1, s1, s27
	s_and_saveexec_b32 s27, s1
	s_cbranch_execz .LBB37_12
; %bb.9:                                ;   in Loop: Header=BB37_8 Depth=1
	v_mbcnt_lo_u32_b32 v3, exec_lo, 0
	s_mov_b32 s28, exec_lo
	v_cmpx_eq_u32_e32 0, v3
	s_cbranch_execz .LBB37_11
; %bb.10:                               ;   in Loop: Header=BB37_8 Depth=1
	v_mov_b32_e32 v3, s20
	v_mov_b32_e32 v4, s21
	global_atomic_umin_x2 v7, v[3:4], s[2:3]
.LBB37_11:                              ;   in Loop: Header=BB37_8 Depth=1
	s_or_b32 exec_lo, exec_lo, s28
	v_mov_b32_e32 v8, 1.0
.LBB37_12:                              ;   in Loop: Header=BB37_8 Depth=1
	s_or_b32 exec_lo, exec_lo, s27
	s_mov_b32 s1, -1
	s_mov_b32 s27, 0
	s_cmp_lt_i32 s9, 1
	s_mov_b32 s28, 0
	s_cbranch_scc1 .LBB37_27
; %bb.13:                               ;   in Loop: Header=BB37_8 Depth=1
	s_cmp_eq_u32 s9, 1
	s_mov_b32 s28, -1
	s_cbranch_scc0 .LBB37_21
; %bb.14:                               ;   in Loop: Header=BB37_8 Depth=1
	s_mov_b32 s28, 0
	s_mov_b32 s29, exec_lo
	v_cmpx_le_i64_e64 s[18:19], v[1:2]
	s_cbranch_execz .LBB37_20
; %bb.15:                               ;   in Loop: Header=BB37_8 Depth=1
	s_mov_b32 s28, -1
	s_and_saveexec_b32 s1, vcc_lo
	s_xor_b32 s1, exec_lo, s1
	s_cbranch_execz .LBB37_19
; %bb.16:                               ;   in Loop: Header=BB37_8 Depth=1
	s_andn2_b32 vcc_lo, exec_lo, s25
	s_cbranch_vccnz .LBB37_18
; %bb.17:                               ;   in Loop: Header=BB37_8 Depth=1
	v_div_scale_f32 v3, null, v8, v8, 1.0
	v_div_scale_f32 v10, vcc_lo, 1.0, v8, 1.0
	v_rcp_f32_e32 v4, v3
	v_fma_f32 v9, -v3, v4, 1.0
	v_fmac_f32_e32 v4, v9, v4
	v_mul_f32_e32 v9, v10, v4
	v_fma_f32 v11, -v3, v9, v10
	v_fmac_f32_e32 v9, v11, v4
	v_fma_f32 v3, -v3, v9, v10
	v_div_fmas_f32 v3, v3, v4, v9
	v_mov_b32_e32 v4, s26
	v_div_fixup_f32 v3, v3, v8, 1.0
	ds_write_b32 v4, v3
.LBB37_18:                              ;   in Loop: Header=BB37_8 Depth=1
	s_xor_b32 s28, exec_lo, -1
.LBB37_19:                              ;   in Loop: Header=BB37_8 Depth=1
	s_or_b32 exec_lo, exec_lo, s1
	s_and_b32 s28, s28, exec_lo
.LBB37_20:                              ;   in Loop: Header=BB37_8 Depth=1
	s_or_b32 exec_lo, exec_lo, s29
.LBB37_21:                              ;   in Loop: Header=BB37_8 Depth=1
	s_mov_b32 s1, 4
.LBB37_22:                              ;   in Loop: Header=BB37_8 Depth=1
	v_mov_b32_e32 v3, s1
	v_mov_b32_e32 v4, v6
	s_and_saveexec_b32 s0, s28
	s_cbranch_execz .LBB37_34
.LBB37_23:                              ;   in Loop: Header=BB37_8 Depth=1
	v_lshlrev_b64 v[1:2], 2, v[1:2]
	s_mov_b32 s1, exec_lo
	v_add_co_u32 v3, vcc_lo, s14, v1
	v_add_co_ci_u32_e64 v4, null, s15, v2, vcc_lo
	global_load_dword v9, v[3:4], off glc dlc
	s_waitcnt vmcnt(0)
	v_cmpx_eq_u32_e32 0, v9
	s_cbranch_execz .LBB37_26
; %bb.24:                               ;   in Loop: Header=BB37_8 Depth=1
	s_mov_b32 s28, 0
.LBB37_25:                              ;   Parent Loop BB37_8 Depth=1
                                        ; =>  This Inner Loop Header: Depth=2
	global_load_dword v9, v[3:4], off glc dlc
	s_waitcnt vmcnt(0)
	v_cmp_ne_u32_e32 vcc_lo, 0, v9
	s_or_b32 s28, vcc_lo, s28
	s_andn2_b32 exec_lo, exec_lo, s28
	s_cbranch_execnz .LBB37_25
.LBB37_26:                              ;   in Loop: Header=BB37_8 Depth=1
	s_or_b32 exec_lo, exec_lo, s1
	v_add_co_u32 v1, vcc_lo, s12, v1
	v_add_co_ci_u32_e64 v2, null, s13, v2, vcc_lo
	s_waitcnt lgkmcnt(0)
	s_waitcnt_vscnt null, 0x0
	buffer_gl1_inv
	buffer_gl0_inv
	v_mov_b32_e32 v3, 0
	s_andn2_b32 s27, s27, exec_lo
	global_load_dword v1, v[1:2], off
	s_waitcnt vmcnt(0)
	v_fma_f32 v4, -v8, v1, v6
	s_or_b32 exec_lo, exec_lo, s0
	s_and_saveexec_b32 s0, s27
	s_cbranch_execnz .LBB37_35
	s_branch .LBB37_38
.LBB37_27:                              ;   in Loop: Header=BB37_8 Depth=1
	s_and_b32 vcc_lo, exec_lo, s1
	s_mov_b32 s1, 4
	s_cbranch_vccz .LBB37_22
; %bb.28:                               ;   in Loop: Header=BB37_8 Depth=1
	s_cmp_eq_u32 s9, 0
	s_cbranch_scc1 .LBB37_30
; %bb.29:                               ;   in Loop: Header=BB37_8 Depth=1
	s_mov_b32 s28, -1
	s_branch .LBB37_33
.LBB37_30:                              ;   in Loop: Header=BB37_8 Depth=1
	s_mov_b32 s28, 0
	s_mov_b32 s1, exec_lo
	v_cmpx_ge_i64_e64 s[18:19], v[1:2]
; %bb.31:                               ;   in Loop: Header=BB37_8 Depth=1
	s_mov_b32 s27, exec_lo
	s_and_b32 s28, s0, exec_lo
; %bb.32:                               ;   in Loop: Header=BB37_8 Depth=1
	s_or_b32 exec_lo, exec_lo, s1
.LBB37_33:                              ;   in Loop: Header=BB37_8 Depth=1
	s_mov_b32 s1, 2
	v_mov_b32_e32 v3, s1
	v_mov_b32_e32 v4, v6
	s_and_saveexec_b32 s0, s28
	s_cbranch_execnz .LBB37_23
.LBB37_34:                              ;   in Loop: Header=BB37_8 Depth=1
	s_or_b32 exec_lo, exec_lo, s0
	s_and_saveexec_b32 s0, s27
	s_cbranch_execz .LBB37_38
.LBB37_35:                              ;   in Loop: Header=BB37_8 Depth=1
	s_andn2_b32 vcc_lo, exec_lo, s25
	s_cbranch_vccnz .LBB37_37
; %bb.36:                               ;   in Loop: Header=BB37_8 Depth=1
	v_div_scale_f32 v1, null, v8, v8, 1.0
	v_div_scale_f32 v4, vcc_lo, 1.0, v8, 1.0
	v_rcp_f32_e32 v2, v1
	v_fma_f32 v3, -v1, v2, 1.0
	v_fmac_f32_e32 v2, v3, v2
	v_mul_f32_e32 v3, v4, v2
	v_fma_f32 v9, -v1, v3, v4
	v_fmac_f32_e32 v3, v9, v2
	v_fma_f32 v1, -v1, v3, v4
	v_div_fmas_f32 v1, v1, v2, v3
	v_mov_b32_e32 v2, s26
	v_div_fixup_f32 v1, v1, v8, 1.0
	ds_write_b32 v2, v1
.LBB37_37:                              ;   in Loop: Header=BB37_8 Depth=1
	v_mov_b32_e32 v3, 2
	v_mov_b32_e32 v4, v6
.LBB37_38:                              ;   in Loop: Header=BB37_8 Depth=1
	s_or_b32 exec_lo, exec_lo, s0
	v_mov_b32_e32 v6, v4
	s_mov_b32 s0, -1
	s_mov_b32 s1, -1
	s_mov_b32 s27, exec_lo
	v_cmpx_gt_i32_e32 4, v3
; %bb.39:                               ;   in Loop: Header=BB37_8 Depth=1
	v_cmp_eq_u32_e32 vcc_lo, 0, v3
	s_orn2_b32 s1, vcc_lo, exec_lo
; %bb.40:                               ;   in Loop: Header=BB37_8 Depth=1
	s_or_b32 exec_lo, exec_lo, s27
	s_and_saveexec_b32 s27, s1
	s_cbranch_execz .LBB37_7
; %bb.41:                               ;   in Loop: Header=BB37_8 Depth=1
	v_add_nc_u32_e32 v0, 32, v0
	v_cmp_le_i32_e32 vcc_lo, s23, v0
	s_orn2_b32 s0, vcc_lo, exec_lo
	s_branch .LBB37_7
.LBB37_42:
	s_or_b32 exec_lo, exec_lo, s24
.LBB37_43:
	s_or_b32 exec_lo, exec_lo, s22
	v_mbcnt_lo_u32_b32 v0, -1, 0
	s_cmp_lg_u32 s10, 0
	v_xor_b32_e32 v1, 16, v0
	v_xor_b32_e32 v2, 8, v0
	;; [unrolled: 1-line block ×3, first 2 shown]
	v_cmp_gt_i32_e32 vcc_lo, 32, v1
	v_cndmask_b32_e32 v1, v0, v1, vcc_lo
	v_cmp_gt_i32_e32 vcc_lo, 32, v2
	v_lshlrev_b32_e32 v1, 2, v1
	v_cndmask_b32_e32 v2, v0, v2, vcc_lo
	v_cmp_gt_i32_e32 vcc_lo, 32, v3
	ds_bpermute_b32 v1, v1, v6
	v_lshlrev_b32_e32 v2, 2, v2
	v_cndmask_b32_e32 v3, v0, v3, vcc_lo
	v_lshlrev_b32_e32 v3, 2, v3
	s_waitcnt lgkmcnt(0)
	v_add_f32_e32 v1, v6, v1
	ds_bpermute_b32 v2, v2, v1
	s_waitcnt lgkmcnt(0)
	v_add_f32_e32 v1, v1, v2
	ds_bpermute_b32 v2, v3, v1
	v_xor_b32_e32 v3, 2, v0
	v_cmp_gt_i32_e32 vcc_lo, 32, v3
	v_cndmask_b32_e32 v3, v0, v3, vcc_lo
	v_lshlrev_b32_e32 v3, 2, v3
	s_waitcnt lgkmcnt(0)
	v_add_f32_e32 v1, v1, v2
	ds_bpermute_b32 v2, v3, v1
	v_xor_b32_e32 v3, 1, v0
	v_cmp_gt_i32_e32 vcc_lo, 32, v3
	v_cndmask_b32_e32 v0, v0, v3, vcc_lo
	v_lshlrev_b32_e32 v0, 2, v0
	s_waitcnt lgkmcnt(0)
	v_add_f32_e32 v1, v1, v2
	ds_bpermute_b32 v0, v0, v1
	s_waitcnt lgkmcnt(0)
	v_add_f32_e32 v0, v1, v0
	s_cbranch_scc1 .LBB37_45
; %bb.44:
	s_lshl_b32 s0, s11, 2
	s_waitcnt_vscnt null, 0x0
	buffer_gl0_inv
	v_mov_b32_e32 v1, s0
	ds_read_b32 v1, v1
	s_waitcnt lgkmcnt(0)
	v_mul_f32_e32 v0, v0, v1
.LBB37_45:
	s_mov_b32 s0, exec_lo
	v_cmpx_eq_u32_e32 31, v5
	s_cbranch_execz .LBB37_47
; %bb.46:
	v_mov_b32_e32 v1, 0
	s_add_u32 s0, s12, s16
	v_mov_b32_e32 v2, 1
	s_addc_u32 s1, s13, s17
	s_add_u32 s2, s14, s16
	s_addc_u32 s3, s15, s17
	global_store_dword v1, v0, s[0:1] glc slc
	s_waitcnt_vscnt null, 0x0
	global_store_dword v1, v2, s[2:3]
.LBB37_47:
	s_endpgm
	.section	.rodata,"a",@progbits
	.p2align	6, 0x0
	.amdhsa_kernel _ZN9rocsparseL12csrsv_kernelILj1024ELj32ELb0EilfEEvT3_NS_24const_host_device_scalarIT4_EEPKT2_PKS1_PKS3_SB_lPS3_PiS9_iPS1_21rocsparse_index_base_20rocsparse_fill_mode_20rocsparse_diag_type_b
		.amdhsa_group_segment_fixed_size 128
		.amdhsa_private_segment_fixed_size 0
		.amdhsa_kernarg_size 112
		.amdhsa_user_sgpr_count 6
		.amdhsa_user_sgpr_private_segment_buffer 1
		.amdhsa_user_sgpr_dispatch_ptr 0
		.amdhsa_user_sgpr_queue_ptr 0
		.amdhsa_user_sgpr_kernarg_segment_ptr 1
		.amdhsa_user_sgpr_dispatch_id 0
		.amdhsa_user_sgpr_flat_scratch_init 0
		.amdhsa_user_sgpr_private_segment_size 0
		.amdhsa_wavefront_size32 1
		.amdhsa_uses_dynamic_stack 0
		.amdhsa_system_sgpr_private_segment_wavefront_offset 0
		.amdhsa_system_sgpr_workgroup_id_x 1
		.amdhsa_system_sgpr_workgroup_id_y 0
		.amdhsa_system_sgpr_workgroup_id_z 0
		.amdhsa_system_sgpr_workgroup_info 0
		.amdhsa_system_vgpr_workitem_id 0
		.amdhsa_next_free_vgpr 12
		.amdhsa_next_free_sgpr 30
		.amdhsa_reserve_vcc 1
		.amdhsa_reserve_flat_scratch 0
		.amdhsa_float_round_mode_32 0
		.amdhsa_float_round_mode_16_64 0
		.amdhsa_float_denorm_mode_32 3
		.amdhsa_float_denorm_mode_16_64 3
		.amdhsa_dx10_clamp 1
		.amdhsa_ieee_mode 1
		.amdhsa_fp16_overflow 0
		.amdhsa_workgroup_processor_mode 1
		.amdhsa_memory_ordered 1
		.amdhsa_forward_progress 1
		.amdhsa_shared_vgpr_count 0
		.amdhsa_exception_fp_ieee_invalid_op 0
		.amdhsa_exception_fp_denorm_src 0
		.amdhsa_exception_fp_ieee_div_zero 0
		.amdhsa_exception_fp_ieee_overflow 0
		.amdhsa_exception_fp_ieee_underflow 0
		.amdhsa_exception_fp_ieee_inexact 0
		.amdhsa_exception_int_div_zero 0
	.end_amdhsa_kernel
	.section	.text._ZN9rocsparseL12csrsv_kernelILj1024ELj32ELb0EilfEEvT3_NS_24const_host_device_scalarIT4_EEPKT2_PKS1_PKS3_SB_lPS3_PiS9_iPS1_21rocsparse_index_base_20rocsparse_fill_mode_20rocsparse_diag_type_b,"axG",@progbits,_ZN9rocsparseL12csrsv_kernelILj1024ELj32ELb0EilfEEvT3_NS_24const_host_device_scalarIT4_EEPKT2_PKS1_PKS3_SB_lPS3_PiS9_iPS1_21rocsparse_index_base_20rocsparse_fill_mode_20rocsparse_diag_type_b,comdat
.Lfunc_end37:
	.size	_ZN9rocsparseL12csrsv_kernelILj1024ELj32ELb0EilfEEvT3_NS_24const_host_device_scalarIT4_EEPKT2_PKS1_PKS3_SB_lPS3_PiS9_iPS1_21rocsparse_index_base_20rocsparse_fill_mode_20rocsparse_diag_type_b, .Lfunc_end37-_ZN9rocsparseL12csrsv_kernelILj1024ELj32ELb0EilfEEvT3_NS_24const_host_device_scalarIT4_EEPKT2_PKS1_PKS3_SB_lPS3_PiS9_iPS1_21rocsparse_index_base_20rocsparse_fill_mode_20rocsparse_diag_type_b
                                        ; -- End function
	.set _ZN9rocsparseL12csrsv_kernelILj1024ELj32ELb0EilfEEvT3_NS_24const_host_device_scalarIT4_EEPKT2_PKS1_PKS3_SB_lPS3_PiS9_iPS1_21rocsparse_index_base_20rocsparse_fill_mode_20rocsparse_diag_type_b.num_vgpr, 12
	.set _ZN9rocsparseL12csrsv_kernelILj1024ELj32ELb0EilfEEvT3_NS_24const_host_device_scalarIT4_EEPKT2_PKS1_PKS3_SB_lPS3_PiS9_iPS1_21rocsparse_index_base_20rocsparse_fill_mode_20rocsparse_diag_type_b.num_agpr, 0
	.set _ZN9rocsparseL12csrsv_kernelILj1024ELj32ELb0EilfEEvT3_NS_24const_host_device_scalarIT4_EEPKT2_PKS1_PKS3_SB_lPS3_PiS9_iPS1_21rocsparse_index_base_20rocsparse_fill_mode_20rocsparse_diag_type_b.numbered_sgpr, 30
	.set _ZN9rocsparseL12csrsv_kernelILj1024ELj32ELb0EilfEEvT3_NS_24const_host_device_scalarIT4_EEPKT2_PKS1_PKS3_SB_lPS3_PiS9_iPS1_21rocsparse_index_base_20rocsparse_fill_mode_20rocsparse_diag_type_b.num_named_barrier, 0
	.set _ZN9rocsparseL12csrsv_kernelILj1024ELj32ELb0EilfEEvT3_NS_24const_host_device_scalarIT4_EEPKT2_PKS1_PKS3_SB_lPS3_PiS9_iPS1_21rocsparse_index_base_20rocsparse_fill_mode_20rocsparse_diag_type_b.private_seg_size, 0
	.set _ZN9rocsparseL12csrsv_kernelILj1024ELj32ELb0EilfEEvT3_NS_24const_host_device_scalarIT4_EEPKT2_PKS1_PKS3_SB_lPS3_PiS9_iPS1_21rocsparse_index_base_20rocsparse_fill_mode_20rocsparse_diag_type_b.uses_vcc, 1
	.set _ZN9rocsparseL12csrsv_kernelILj1024ELj32ELb0EilfEEvT3_NS_24const_host_device_scalarIT4_EEPKT2_PKS1_PKS3_SB_lPS3_PiS9_iPS1_21rocsparse_index_base_20rocsparse_fill_mode_20rocsparse_diag_type_b.uses_flat_scratch, 0
	.set _ZN9rocsparseL12csrsv_kernelILj1024ELj32ELb0EilfEEvT3_NS_24const_host_device_scalarIT4_EEPKT2_PKS1_PKS3_SB_lPS3_PiS9_iPS1_21rocsparse_index_base_20rocsparse_fill_mode_20rocsparse_diag_type_b.has_dyn_sized_stack, 0
	.set _ZN9rocsparseL12csrsv_kernelILj1024ELj32ELb0EilfEEvT3_NS_24const_host_device_scalarIT4_EEPKT2_PKS1_PKS3_SB_lPS3_PiS9_iPS1_21rocsparse_index_base_20rocsparse_fill_mode_20rocsparse_diag_type_b.has_recursion, 0
	.set _ZN9rocsparseL12csrsv_kernelILj1024ELj32ELb0EilfEEvT3_NS_24const_host_device_scalarIT4_EEPKT2_PKS1_PKS3_SB_lPS3_PiS9_iPS1_21rocsparse_index_base_20rocsparse_fill_mode_20rocsparse_diag_type_b.has_indirect_call, 0
	.section	.AMDGPU.csdata,"",@progbits
; Kernel info:
; codeLenInByte = 1452
; TotalNumSgprs: 32
; NumVgprs: 12
; ScratchSize: 0
; MemoryBound: 0
; FloatMode: 240
; IeeeMode: 1
; LDSByteSize: 128 bytes/workgroup (compile time only)
; SGPRBlocks: 0
; VGPRBlocks: 1
; NumSGPRsForWavesPerEU: 32
; NumVGPRsForWavesPerEU: 12
; Occupancy: 16
; WaveLimiterHint : 1
; COMPUTE_PGM_RSRC2:SCRATCH_EN: 0
; COMPUTE_PGM_RSRC2:USER_SGPR: 6
; COMPUTE_PGM_RSRC2:TRAP_HANDLER: 0
; COMPUTE_PGM_RSRC2:TGID_X_EN: 1
; COMPUTE_PGM_RSRC2:TGID_Y_EN: 0
; COMPUTE_PGM_RSRC2:TGID_Z_EN: 0
; COMPUTE_PGM_RSRC2:TIDIG_COMP_CNT: 0
	.section	.text._ZN9rocsparseL12csrsv_kernelILj1024ELj64ELb0EilfEEvT3_NS_24const_host_device_scalarIT4_EEPKT2_PKS1_PKS3_SB_lPS3_PiS9_iPS1_21rocsparse_index_base_20rocsparse_fill_mode_20rocsparse_diag_type_b,"axG",@progbits,_ZN9rocsparseL12csrsv_kernelILj1024ELj64ELb0EilfEEvT3_NS_24const_host_device_scalarIT4_EEPKT2_PKS1_PKS3_SB_lPS3_PiS9_iPS1_21rocsparse_index_base_20rocsparse_fill_mode_20rocsparse_diag_type_b,comdat
	.globl	_ZN9rocsparseL12csrsv_kernelILj1024ELj64ELb0EilfEEvT3_NS_24const_host_device_scalarIT4_EEPKT2_PKS1_PKS3_SB_lPS3_PiS9_iPS1_21rocsparse_index_base_20rocsparse_fill_mode_20rocsparse_diag_type_b ; -- Begin function _ZN9rocsparseL12csrsv_kernelILj1024ELj64ELb0EilfEEvT3_NS_24const_host_device_scalarIT4_EEPKT2_PKS1_PKS3_SB_lPS3_PiS9_iPS1_21rocsparse_index_base_20rocsparse_fill_mode_20rocsparse_diag_type_b
	.p2align	8
	.type	_ZN9rocsparseL12csrsv_kernelILj1024ELj64ELb0EilfEEvT3_NS_24const_host_device_scalarIT4_EEPKT2_PKS1_PKS3_SB_lPS3_PiS9_iPS1_21rocsparse_index_base_20rocsparse_fill_mode_20rocsparse_diag_type_b,@function
_ZN9rocsparseL12csrsv_kernelILj1024ELj64ELb0EilfEEvT3_NS_24const_host_device_scalarIT4_EEPKT2_PKS1_PKS3_SB_lPS3_PiS9_iPS1_21rocsparse_index_base_20rocsparse_fill_mode_20rocsparse_diag_type_b: ; @_ZN9rocsparseL12csrsv_kernelILj1024ELj64ELb0EilfEEvT3_NS_24const_host_device_scalarIT4_EEPKT2_PKS1_PKS3_SB_lPS3_PiS9_iPS1_21rocsparse_index_base_20rocsparse_fill_mode_20rocsparse_diag_type_b
; %bb.0:
	s_clause 0x1
	s_load_dwordx4 s[8:11], s[4:5], 0x60
	s_load_dwordx4 s[0:3], s[4:5], 0x0
	s_waitcnt lgkmcnt(0)
	s_bitcmp1_b32 s11, 0
	s_cselect_b32 s7, -1, 0
	s_and_b32 vcc_lo, exec_lo, s7
	s_cbranch_vccnz .LBB38_2
; %bb.1:
	s_load_dword s2, s[2:3], 0x0
.LBB38_2:
	v_readfirstlane_b32 s3, v0
	s_lshl_b32 s6, s6, 4
	s_mov_b32 s7, 0
	s_lshr_b32 s11, s3, 6
	s_add_i32 s6, s11, s6
	v_cmp_le_i64_e64 s0, s[0:1], s[6:7]
	s_and_b32 vcc_lo, exec_lo, s0
	s_cbranch_vccnz .LBB38_47
; %bb.3:
	s_clause 0x1
	s_load_dword s0, s[4:5], 0x50
	s_load_dwordx2 s[12:13], s[4:5], 0x48
	s_lshl_b64 s[6:7], s[6:7], 3
	v_and_b32_e32 v5, 63, v0
	v_mov_b32_e32 v6, 0
	s_waitcnt lgkmcnt(0)
	s_ashr_i32 s1, s0, 31
	s_add_u32 s3, s12, s6
	s_addc_u32 s6, s13, s7
	s_lshl_b64 s[0:1], s[0:1], 3
	s_add_u32 s0, s3, s0
	s_addc_u32 s1, s6, s1
	s_load_dwordx2 s[18:19], s[0:1], 0x0
	s_load_dwordx2 s[0:1], s[4:5], 0x10
	s_mov_b32 s3, exec_lo
	s_waitcnt lgkmcnt(0)
	s_lshl_b64 s[16:17], s[18:19], 2
	s_add_u32 s0, s0, s16
	s_addc_u32 s1, s1, s17
	s_load_dwordx4 s[12:15], s[4:5], 0x38
	s_load_dwordx2 s[0:1], s[0:1], 0x0
	v_cmpx_eq_u32_e32 0, v5
	s_cbranch_execz .LBB38_5
; %bb.4:
	s_load_dwordx4 s[20:23], s[4:5], 0x28
	s_waitcnt lgkmcnt(0)
	s_mul_i32 s6, s18, s23
	s_mul_hi_u32 s7, s18, s22
	s_mul_i32 s23, s19, s22
	s_add_i32 s6, s7, s6
	s_add_i32 s7, s6, s23
	s_mul_i32 s6, s18, s22
	s_lshl_b64 s[6:7], s[6:7], 2
	s_add_u32 s6, s20, s6
	s_addc_u32 s7, s21, s7
	s_load_dword s6, s[6:7], 0x0
	s_waitcnt lgkmcnt(0)
	v_mul_f32_e64 v6, s2, s6
.LBB38_5:
	s_or_b32 exec_lo, exec_lo, s3
	v_subrev_nc_u32_e32 v0, s8, v5
	s_waitcnt lgkmcnt(0)
	s_sub_i32 s23, s1, s8
	s_mov_b32 s22, exec_lo
	v_add_nc_u32_e32 v0, s0, v0
	v_cmpx_gt_i32_e64 s23, v0
	s_cbranch_execz .LBB38_43
; %bb.6:
	s_clause 0x1
	s_load_dwordx2 s[2:3], s[4:5], 0x58
	s_load_dwordx4 s[4:7], s[4:5], 0x18
	s_cmp_eq_u32 s10, 0
	v_mov_b32_e32 v7, 0
	s_cselect_b32 s25, -1, 0
	s_add_u32 s20, s18, s8
	s_mov_b32 s24, 0
	s_addc_u32 s21, s19, 0
	s_lshl_b32 s26, s11, 2
	s_branch .LBB38_8
.LBB38_7:                               ;   in Loop: Header=BB38_8 Depth=1
	s_or_b32 exec_lo, exec_lo, s27
	s_and_b32 s0, exec_lo, s0
	s_or_b32 s24, s0, s24
	s_andn2_b32 exec_lo, exec_lo, s24
	s_cbranch_execz .LBB38_42
.LBB38_8:                               ; =>This Loop Header: Depth=1
                                        ;     Child Loop BB38_25 Depth 2
	v_ashrrev_i32_e32 v1, 31, v0
	v_lshlrev_b64 v[2:3], 3, v[0:1]
	v_lshlrev_b64 v[8:9], 2, v[0:1]
	s_waitcnt lgkmcnt(0)
	v_add_co_u32 v2, vcc_lo, s4, v2
	v_add_co_ci_u32_e64 v3, null, s5, v3, vcc_lo
	global_load_dwordx2 v[1:2], v[2:3], off slc
	v_add_co_u32 v3, vcc_lo, s6, v8
	v_add_co_ci_u32_e64 v4, null, s7, v9, vcc_lo
	global_load_dword v8, v[3:4], off slc
	s_waitcnt vmcnt(1)
	v_sub_co_u32 v1, vcc_lo, v1, s8
	v_subrev_co_ci_u32_e64 v2, null, 0, v2, vcc_lo
	v_cmp_eq_u64_e32 vcc_lo, s[18:19], v[1:2]
	s_waitcnt vmcnt(0)
	v_cmp_eq_f32_e64 s1, 0, v8
	v_cmp_ne_u64_e64 s0, s[18:19], v[1:2]
	s_and_b32 s27, s25, vcc_lo
	s_and_b32 s1, s1, s27
	s_and_saveexec_b32 s27, s1
	s_cbranch_execz .LBB38_12
; %bb.9:                                ;   in Loop: Header=BB38_8 Depth=1
	v_mbcnt_lo_u32_b32 v3, exec_lo, 0
	s_mov_b32 s28, exec_lo
	v_cmpx_eq_u32_e32 0, v3
	s_cbranch_execz .LBB38_11
; %bb.10:                               ;   in Loop: Header=BB38_8 Depth=1
	v_mov_b32_e32 v3, s20
	v_mov_b32_e32 v4, s21
	global_atomic_umin_x2 v7, v[3:4], s[2:3]
.LBB38_11:                              ;   in Loop: Header=BB38_8 Depth=1
	s_or_b32 exec_lo, exec_lo, s28
	v_mov_b32_e32 v8, 1.0
.LBB38_12:                              ;   in Loop: Header=BB38_8 Depth=1
	s_or_b32 exec_lo, exec_lo, s27
	s_mov_b32 s1, -1
	s_mov_b32 s27, 0
	s_cmp_lt_i32 s9, 1
	s_mov_b32 s28, 0
	s_cbranch_scc1 .LBB38_27
; %bb.13:                               ;   in Loop: Header=BB38_8 Depth=1
	s_cmp_eq_u32 s9, 1
	s_mov_b32 s28, -1
	s_cbranch_scc0 .LBB38_21
; %bb.14:                               ;   in Loop: Header=BB38_8 Depth=1
	s_mov_b32 s28, 0
	s_mov_b32 s29, exec_lo
	v_cmpx_le_i64_e64 s[18:19], v[1:2]
	s_cbranch_execz .LBB38_20
; %bb.15:                               ;   in Loop: Header=BB38_8 Depth=1
	s_mov_b32 s28, -1
	s_and_saveexec_b32 s1, vcc_lo
	s_xor_b32 s1, exec_lo, s1
	s_cbranch_execz .LBB38_19
; %bb.16:                               ;   in Loop: Header=BB38_8 Depth=1
	s_andn2_b32 vcc_lo, exec_lo, s25
	s_cbranch_vccnz .LBB38_18
; %bb.17:                               ;   in Loop: Header=BB38_8 Depth=1
	v_div_scale_f32 v3, null, v8, v8, 1.0
	v_div_scale_f32 v10, vcc_lo, 1.0, v8, 1.0
	v_rcp_f32_e32 v4, v3
	v_fma_f32 v9, -v3, v4, 1.0
	v_fmac_f32_e32 v4, v9, v4
	v_mul_f32_e32 v9, v10, v4
	v_fma_f32 v11, -v3, v9, v10
	v_fmac_f32_e32 v9, v11, v4
	v_fma_f32 v3, -v3, v9, v10
	v_div_fmas_f32 v3, v3, v4, v9
	v_mov_b32_e32 v4, s26
	v_div_fixup_f32 v3, v3, v8, 1.0
	ds_write_b32 v4, v3
.LBB38_18:                              ;   in Loop: Header=BB38_8 Depth=1
	s_xor_b32 s28, exec_lo, -1
.LBB38_19:                              ;   in Loop: Header=BB38_8 Depth=1
	s_or_b32 exec_lo, exec_lo, s1
	s_and_b32 s28, s28, exec_lo
.LBB38_20:                              ;   in Loop: Header=BB38_8 Depth=1
	s_or_b32 exec_lo, exec_lo, s29
.LBB38_21:                              ;   in Loop: Header=BB38_8 Depth=1
	s_mov_b32 s1, 4
.LBB38_22:                              ;   in Loop: Header=BB38_8 Depth=1
	v_mov_b32_e32 v3, s1
	v_mov_b32_e32 v4, v6
	s_and_saveexec_b32 s0, s28
	s_cbranch_execz .LBB38_34
.LBB38_23:                              ;   in Loop: Header=BB38_8 Depth=1
	v_lshlrev_b64 v[1:2], 2, v[1:2]
	s_mov_b32 s1, exec_lo
	v_add_co_u32 v3, vcc_lo, s14, v1
	v_add_co_ci_u32_e64 v4, null, s15, v2, vcc_lo
	global_load_dword v9, v[3:4], off glc dlc
	s_waitcnt vmcnt(0)
	v_cmpx_eq_u32_e32 0, v9
	s_cbranch_execz .LBB38_26
; %bb.24:                               ;   in Loop: Header=BB38_8 Depth=1
	s_mov_b32 s28, 0
.LBB38_25:                              ;   Parent Loop BB38_8 Depth=1
                                        ; =>  This Inner Loop Header: Depth=2
	global_load_dword v9, v[3:4], off glc dlc
	s_waitcnt vmcnt(0)
	v_cmp_ne_u32_e32 vcc_lo, 0, v9
	s_or_b32 s28, vcc_lo, s28
	s_andn2_b32 exec_lo, exec_lo, s28
	s_cbranch_execnz .LBB38_25
.LBB38_26:                              ;   in Loop: Header=BB38_8 Depth=1
	s_or_b32 exec_lo, exec_lo, s1
	v_add_co_u32 v1, vcc_lo, s12, v1
	v_add_co_ci_u32_e64 v2, null, s13, v2, vcc_lo
	s_waitcnt lgkmcnt(0)
	s_waitcnt_vscnt null, 0x0
	buffer_gl1_inv
	buffer_gl0_inv
	v_mov_b32_e32 v3, 0
	s_andn2_b32 s27, s27, exec_lo
	global_load_dword v1, v[1:2], off
	s_waitcnt vmcnt(0)
	v_fma_f32 v4, -v8, v1, v6
	s_or_b32 exec_lo, exec_lo, s0
	s_and_saveexec_b32 s0, s27
	s_cbranch_execnz .LBB38_35
	s_branch .LBB38_38
.LBB38_27:                              ;   in Loop: Header=BB38_8 Depth=1
	s_and_b32 vcc_lo, exec_lo, s1
	s_mov_b32 s1, 4
	s_cbranch_vccz .LBB38_22
; %bb.28:                               ;   in Loop: Header=BB38_8 Depth=1
	s_cmp_eq_u32 s9, 0
	s_cbranch_scc1 .LBB38_30
; %bb.29:                               ;   in Loop: Header=BB38_8 Depth=1
	s_mov_b32 s28, -1
	s_branch .LBB38_33
.LBB38_30:                              ;   in Loop: Header=BB38_8 Depth=1
	s_mov_b32 s28, 0
	s_mov_b32 s1, exec_lo
	v_cmpx_ge_i64_e64 s[18:19], v[1:2]
; %bb.31:                               ;   in Loop: Header=BB38_8 Depth=1
	s_mov_b32 s27, exec_lo
	s_and_b32 s28, s0, exec_lo
; %bb.32:                               ;   in Loop: Header=BB38_8 Depth=1
	s_or_b32 exec_lo, exec_lo, s1
.LBB38_33:                              ;   in Loop: Header=BB38_8 Depth=1
	s_mov_b32 s1, 2
	v_mov_b32_e32 v3, s1
	v_mov_b32_e32 v4, v6
	s_and_saveexec_b32 s0, s28
	s_cbranch_execnz .LBB38_23
.LBB38_34:                              ;   in Loop: Header=BB38_8 Depth=1
	s_or_b32 exec_lo, exec_lo, s0
	s_and_saveexec_b32 s0, s27
	s_cbranch_execz .LBB38_38
.LBB38_35:                              ;   in Loop: Header=BB38_8 Depth=1
	s_andn2_b32 vcc_lo, exec_lo, s25
	s_cbranch_vccnz .LBB38_37
; %bb.36:                               ;   in Loop: Header=BB38_8 Depth=1
	v_div_scale_f32 v1, null, v8, v8, 1.0
	v_div_scale_f32 v4, vcc_lo, 1.0, v8, 1.0
	v_rcp_f32_e32 v2, v1
	v_fma_f32 v3, -v1, v2, 1.0
	v_fmac_f32_e32 v2, v3, v2
	v_mul_f32_e32 v3, v4, v2
	v_fma_f32 v9, -v1, v3, v4
	v_fmac_f32_e32 v3, v9, v2
	v_fma_f32 v1, -v1, v3, v4
	v_div_fmas_f32 v1, v1, v2, v3
	v_mov_b32_e32 v2, s26
	v_div_fixup_f32 v1, v1, v8, 1.0
	ds_write_b32 v2, v1
.LBB38_37:                              ;   in Loop: Header=BB38_8 Depth=1
	v_mov_b32_e32 v3, 2
	v_mov_b32_e32 v4, v6
.LBB38_38:                              ;   in Loop: Header=BB38_8 Depth=1
	s_or_b32 exec_lo, exec_lo, s0
	v_mov_b32_e32 v6, v4
	s_mov_b32 s0, -1
	s_mov_b32 s1, -1
	s_mov_b32 s27, exec_lo
	v_cmpx_gt_i32_e32 4, v3
; %bb.39:                               ;   in Loop: Header=BB38_8 Depth=1
	v_cmp_eq_u32_e32 vcc_lo, 0, v3
	s_orn2_b32 s1, vcc_lo, exec_lo
; %bb.40:                               ;   in Loop: Header=BB38_8 Depth=1
	s_or_b32 exec_lo, exec_lo, s27
	s_and_saveexec_b32 s27, s1
	s_cbranch_execz .LBB38_7
; %bb.41:                               ;   in Loop: Header=BB38_8 Depth=1
	v_add_nc_u32_e32 v0, 64, v0
	v_cmp_le_i32_e32 vcc_lo, s23, v0
	s_orn2_b32 s0, vcc_lo, exec_lo
	s_branch .LBB38_7
.LBB38_42:
	s_or_b32 exec_lo, exec_lo, s24
.LBB38_43:
	s_or_b32 exec_lo, exec_lo, s22
	v_mbcnt_lo_u32_b32 v0, -1, 0
	s_cmp_lg_u32 s10, 0
	v_or_b32_e32 v1, 32, v0
	v_xor_b32_e32 v2, 16, v0
	v_xor_b32_e32 v3, 8, v0
	v_cmp_gt_i32_e32 vcc_lo, 32, v1
	v_cndmask_b32_e32 v1, v0, v1, vcc_lo
	v_cmp_gt_i32_e32 vcc_lo, 32, v2
	v_lshlrev_b32_e32 v1, 2, v1
	v_cndmask_b32_e32 v2, v0, v2, vcc_lo
	v_cmp_gt_i32_e32 vcc_lo, 32, v3
	ds_bpermute_b32 v1, v1, v6
	v_lshlrev_b32_e32 v2, 2, v2
	v_cndmask_b32_e32 v3, v0, v3, vcc_lo
	v_lshlrev_b32_e32 v3, 2, v3
	s_waitcnt lgkmcnt(0)
	v_add_f32_e32 v1, v6, v1
	ds_bpermute_b32 v2, v2, v1
	s_waitcnt lgkmcnt(0)
	v_add_f32_e32 v1, v1, v2
	ds_bpermute_b32 v2, v3, v1
	v_xor_b32_e32 v3, 4, v0
	v_cmp_gt_i32_e32 vcc_lo, 32, v3
	v_cndmask_b32_e32 v3, v0, v3, vcc_lo
	v_lshlrev_b32_e32 v3, 2, v3
	s_waitcnt lgkmcnt(0)
	v_add_f32_e32 v1, v1, v2
	ds_bpermute_b32 v2, v3, v1
	v_xor_b32_e32 v3, 2, v0
	v_cmp_gt_i32_e32 vcc_lo, 32, v3
	v_cndmask_b32_e32 v3, v0, v3, vcc_lo
	v_lshlrev_b32_e32 v3, 2, v3
	;; [unrolled: 7-line block ×3, first 2 shown]
	s_waitcnt lgkmcnt(0)
	v_add_f32_e32 v1, v1, v2
	ds_bpermute_b32 v0, v0, v1
	s_waitcnt lgkmcnt(0)
	v_add_f32_e32 v0, v1, v0
	s_cbranch_scc1 .LBB38_45
; %bb.44:
	s_lshl_b32 s0, s11, 2
	s_waitcnt_vscnt null, 0x0
	buffer_gl0_inv
	v_mov_b32_e32 v1, s0
	ds_read_b32 v1, v1
	s_waitcnt lgkmcnt(0)
	v_mul_f32_e32 v0, v0, v1
.LBB38_45:
	s_mov_b32 s0, exec_lo
	v_cmpx_eq_u32_e32 63, v5
	s_cbranch_execz .LBB38_47
; %bb.46:
	v_mov_b32_e32 v1, 0
	s_add_u32 s0, s12, s16
	v_mov_b32_e32 v2, 1
	s_addc_u32 s1, s13, s17
	s_add_u32 s2, s14, s16
	s_addc_u32 s3, s15, s17
	global_store_dword v1, v0, s[0:1] glc slc
	s_waitcnt_vscnt null, 0x0
	global_store_dword v1, v2, s[2:3]
.LBB38_47:
	s_endpgm
	.section	.rodata,"a",@progbits
	.p2align	6, 0x0
	.amdhsa_kernel _ZN9rocsparseL12csrsv_kernelILj1024ELj64ELb0EilfEEvT3_NS_24const_host_device_scalarIT4_EEPKT2_PKS1_PKS3_SB_lPS3_PiS9_iPS1_21rocsparse_index_base_20rocsparse_fill_mode_20rocsparse_diag_type_b
		.amdhsa_group_segment_fixed_size 64
		.amdhsa_private_segment_fixed_size 0
		.amdhsa_kernarg_size 112
		.amdhsa_user_sgpr_count 6
		.amdhsa_user_sgpr_private_segment_buffer 1
		.amdhsa_user_sgpr_dispatch_ptr 0
		.amdhsa_user_sgpr_queue_ptr 0
		.amdhsa_user_sgpr_kernarg_segment_ptr 1
		.amdhsa_user_sgpr_dispatch_id 0
		.amdhsa_user_sgpr_flat_scratch_init 0
		.amdhsa_user_sgpr_private_segment_size 0
		.amdhsa_wavefront_size32 1
		.amdhsa_uses_dynamic_stack 0
		.amdhsa_system_sgpr_private_segment_wavefront_offset 0
		.amdhsa_system_sgpr_workgroup_id_x 1
		.amdhsa_system_sgpr_workgroup_id_y 0
		.amdhsa_system_sgpr_workgroup_id_z 0
		.amdhsa_system_sgpr_workgroup_info 0
		.amdhsa_system_vgpr_workitem_id 0
		.amdhsa_next_free_vgpr 12
		.amdhsa_next_free_sgpr 30
		.amdhsa_reserve_vcc 1
		.amdhsa_reserve_flat_scratch 0
		.amdhsa_float_round_mode_32 0
		.amdhsa_float_round_mode_16_64 0
		.amdhsa_float_denorm_mode_32 3
		.amdhsa_float_denorm_mode_16_64 3
		.amdhsa_dx10_clamp 1
		.amdhsa_ieee_mode 1
		.amdhsa_fp16_overflow 0
		.amdhsa_workgroup_processor_mode 1
		.amdhsa_memory_ordered 1
		.amdhsa_forward_progress 1
		.amdhsa_shared_vgpr_count 0
		.amdhsa_exception_fp_ieee_invalid_op 0
		.amdhsa_exception_fp_denorm_src 0
		.amdhsa_exception_fp_ieee_div_zero 0
		.amdhsa_exception_fp_ieee_overflow 0
		.amdhsa_exception_fp_ieee_underflow 0
		.amdhsa_exception_fp_ieee_inexact 0
		.amdhsa_exception_int_div_zero 0
	.end_amdhsa_kernel
	.section	.text._ZN9rocsparseL12csrsv_kernelILj1024ELj64ELb0EilfEEvT3_NS_24const_host_device_scalarIT4_EEPKT2_PKS1_PKS3_SB_lPS3_PiS9_iPS1_21rocsparse_index_base_20rocsparse_fill_mode_20rocsparse_diag_type_b,"axG",@progbits,_ZN9rocsparseL12csrsv_kernelILj1024ELj64ELb0EilfEEvT3_NS_24const_host_device_scalarIT4_EEPKT2_PKS1_PKS3_SB_lPS3_PiS9_iPS1_21rocsparse_index_base_20rocsparse_fill_mode_20rocsparse_diag_type_b,comdat
.Lfunc_end38:
	.size	_ZN9rocsparseL12csrsv_kernelILj1024ELj64ELb0EilfEEvT3_NS_24const_host_device_scalarIT4_EEPKT2_PKS1_PKS3_SB_lPS3_PiS9_iPS1_21rocsparse_index_base_20rocsparse_fill_mode_20rocsparse_diag_type_b, .Lfunc_end38-_ZN9rocsparseL12csrsv_kernelILj1024ELj64ELb0EilfEEvT3_NS_24const_host_device_scalarIT4_EEPKT2_PKS1_PKS3_SB_lPS3_PiS9_iPS1_21rocsparse_index_base_20rocsparse_fill_mode_20rocsparse_diag_type_b
                                        ; -- End function
	.set _ZN9rocsparseL12csrsv_kernelILj1024ELj64ELb0EilfEEvT3_NS_24const_host_device_scalarIT4_EEPKT2_PKS1_PKS3_SB_lPS3_PiS9_iPS1_21rocsparse_index_base_20rocsparse_fill_mode_20rocsparse_diag_type_b.num_vgpr, 12
	.set _ZN9rocsparseL12csrsv_kernelILj1024ELj64ELb0EilfEEvT3_NS_24const_host_device_scalarIT4_EEPKT2_PKS1_PKS3_SB_lPS3_PiS9_iPS1_21rocsparse_index_base_20rocsparse_fill_mode_20rocsparse_diag_type_b.num_agpr, 0
	.set _ZN9rocsparseL12csrsv_kernelILj1024ELj64ELb0EilfEEvT3_NS_24const_host_device_scalarIT4_EEPKT2_PKS1_PKS3_SB_lPS3_PiS9_iPS1_21rocsparse_index_base_20rocsparse_fill_mode_20rocsparse_diag_type_b.numbered_sgpr, 30
	.set _ZN9rocsparseL12csrsv_kernelILj1024ELj64ELb0EilfEEvT3_NS_24const_host_device_scalarIT4_EEPKT2_PKS1_PKS3_SB_lPS3_PiS9_iPS1_21rocsparse_index_base_20rocsparse_fill_mode_20rocsparse_diag_type_b.num_named_barrier, 0
	.set _ZN9rocsparseL12csrsv_kernelILj1024ELj64ELb0EilfEEvT3_NS_24const_host_device_scalarIT4_EEPKT2_PKS1_PKS3_SB_lPS3_PiS9_iPS1_21rocsparse_index_base_20rocsparse_fill_mode_20rocsparse_diag_type_b.private_seg_size, 0
	.set _ZN9rocsparseL12csrsv_kernelILj1024ELj64ELb0EilfEEvT3_NS_24const_host_device_scalarIT4_EEPKT2_PKS1_PKS3_SB_lPS3_PiS9_iPS1_21rocsparse_index_base_20rocsparse_fill_mode_20rocsparse_diag_type_b.uses_vcc, 1
	.set _ZN9rocsparseL12csrsv_kernelILj1024ELj64ELb0EilfEEvT3_NS_24const_host_device_scalarIT4_EEPKT2_PKS1_PKS3_SB_lPS3_PiS9_iPS1_21rocsparse_index_base_20rocsparse_fill_mode_20rocsparse_diag_type_b.uses_flat_scratch, 0
	.set _ZN9rocsparseL12csrsv_kernelILj1024ELj64ELb0EilfEEvT3_NS_24const_host_device_scalarIT4_EEPKT2_PKS1_PKS3_SB_lPS3_PiS9_iPS1_21rocsparse_index_base_20rocsparse_fill_mode_20rocsparse_diag_type_b.has_dyn_sized_stack, 0
	.set _ZN9rocsparseL12csrsv_kernelILj1024ELj64ELb0EilfEEvT3_NS_24const_host_device_scalarIT4_EEPKT2_PKS1_PKS3_SB_lPS3_PiS9_iPS1_21rocsparse_index_base_20rocsparse_fill_mode_20rocsparse_diag_type_b.has_recursion, 0
	.set _ZN9rocsparseL12csrsv_kernelILj1024ELj64ELb0EilfEEvT3_NS_24const_host_device_scalarIT4_EEPKT2_PKS1_PKS3_SB_lPS3_PiS9_iPS1_21rocsparse_index_base_20rocsparse_fill_mode_20rocsparse_diag_type_b.has_indirect_call, 0
	.section	.AMDGPU.csdata,"",@progbits
; Kernel info:
; codeLenInByte = 1484
; TotalNumSgprs: 32
; NumVgprs: 12
; ScratchSize: 0
; MemoryBound: 0
; FloatMode: 240
; IeeeMode: 1
; LDSByteSize: 64 bytes/workgroup (compile time only)
; SGPRBlocks: 0
; VGPRBlocks: 1
; NumSGPRsForWavesPerEU: 32
; NumVGPRsForWavesPerEU: 12
; Occupancy: 16
; WaveLimiterHint : 1
; COMPUTE_PGM_RSRC2:SCRATCH_EN: 0
; COMPUTE_PGM_RSRC2:USER_SGPR: 6
; COMPUTE_PGM_RSRC2:TRAP_HANDLER: 0
; COMPUTE_PGM_RSRC2:TGID_X_EN: 1
; COMPUTE_PGM_RSRC2:TGID_Y_EN: 0
; COMPUTE_PGM_RSRC2:TGID_Z_EN: 0
; COMPUTE_PGM_RSRC2:TIDIG_COMP_CNT: 0
	.section	.text._ZN9rocsparseL12csrsv_kernelILj1024ELj64ELb1EildEEvT3_NS_24const_host_device_scalarIT4_EEPKT2_PKS1_PKS3_SB_lPS3_PiS9_iPS1_21rocsparse_index_base_20rocsparse_fill_mode_20rocsparse_diag_type_b,"axG",@progbits,_ZN9rocsparseL12csrsv_kernelILj1024ELj64ELb1EildEEvT3_NS_24const_host_device_scalarIT4_EEPKT2_PKS1_PKS3_SB_lPS3_PiS9_iPS1_21rocsparse_index_base_20rocsparse_fill_mode_20rocsparse_diag_type_b,comdat
	.globl	_ZN9rocsparseL12csrsv_kernelILj1024ELj64ELb1EildEEvT3_NS_24const_host_device_scalarIT4_EEPKT2_PKS1_PKS3_SB_lPS3_PiS9_iPS1_21rocsparse_index_base_20rocsparse_fill_mode_20rocsparse_diag_type_b ; -- Begin function _ZN9rocsparseL12csrsv_kernelILj1024ELj64ELb1EildEEvT3_NS_24const_host_device_scalarIT4_EEPKT2_PKS1_PKS3_SB_lPS3_PiS9_iPS1_21rocsparse_index_base_20rocsparse_fill_mode_20rocsparse_diag_type_b
	.p2align	8
	.type	_ZN9rocsparseL12csrsv_kernelILj1024ELj64ELb1EildEEvT3_NS_24const_host_device_scalarIT4_EEPKT2_PKS1_PKS3_SB_lPS3_PiS9_iPS1_21rocsparse_index_base_20rocsparse_fill_mode_20rocsparse_diag_type_b,@function
_ZN9rocsparseL12csrsv_kernelILj1024ELj64ELb1EildEEvT3_NS_24const_host_device_scalarIT4_EEPKT2_PKS1_PKS3_SB_lPS3_PiS9_iPS1_21rocsparse_index_base_20rocsparse_fill_mode_20rocsparse_diag_type_b: ; @_ZN9rocsparseL12csrsv_kernelILj1024ELj64ELb1EildEEvT3_NS_24const_host_device_scalarIT4_EEPKT2_PKS1_PKS3_SB_lPS3_PiS9_iPS1_21rocsparse_index_base_20rocsparse_fill_mode_20rocsparse_diag_type_b
; %bb.0:
	s_clause 0x1
	s_load_dwordx4 s[8:11], s[4:5], 0x60
	s_load_dwordx4 s[0:3], s[4:5], 0x0
	s_waitcnt lgkmcnt(0)
	s_bitcmp1_b32 s11, 0
	v_mov_b32_e32 v2, s2
	v_mov_b32_e32 v3, s3
	s_cselect_b32 s7, -1, 0
	s_and_b32 vcc_lo, exec_lo, s7
	s_cbranch_vccnz .LBB39_2
; %bb.1:
	v_mov_b32_e32 v1, s2
	v_mov_b32_e32 v2, s3
	flat_load_dwordx2 v[2:3], v[1:2]
.LBB39_2:
	v_readfirstlane_b32 s2, v0
	s_lshl_b32 s3, s6, 4
	s_lshr_b32 s11, s2, 6
	s_add_i32 s2, s11, s3
	s_mov_b32 s3, 0
	v_cmp_le_i64_e64 s0, s[0:1], s[2:3]
	s_and_b32 vcc_lo, exec_lo, s0
	s_cbranch_vccnz .LBB39_49
; %bb.3:
	s_clause 0x1
	s_load_dword s0, s[4:5], 0x50
	s_load_dwordx2 s[6:7], s[4:5], 0x48
	s_lshl_b64 s[2:3], s[2:3], 3
	v_and_b32_e32 v9, 63, v0
	v_mov_b32_e32 v0, 0
	v_mov_b32_e32 v1, 0
	s_waitcnt lgkmcnt(0)
	s_ashr_i32 s1, s0, 31
	s_add_u32 s2, s6, s2
	s_addc_u32 s3, s7, s3
	s_lshl_b64 s[0:1], s[0:1], 3
	s_mov_b32 s6, exec_lo
	s_add_u32 s0, s2, s0
	s_addc_u32 s1, s3, s1
	s_load_dwordx2 s[16:17], s[0:1], 0x0
	s_load_dwordx2 s[0:1], s[4:5], 0x10
	s_waitcnt lgkmcnt(0)
	s_lshl_b64 s[2:3], s[16:17], 2
	s_add_u32 s0, s0, s2
	s_addc_u32 s1, s1, s3
	s_load_dwordx4 s[12:15], s[4:5], 0x38
	s_load_dwordx2 s[0:1], s[0:1], 0x0
	v_cmpx_eq_u32_e32 0, v9
	s_cbranch_execz .LBB39_5
; %bb.4:
	s_load_dwordx4 s[20:23], s[4:5], 0x28
	s_waitcnt lgkmcnt(0)
	s_mul_i32 s7, s16, s23
	s_mul_hi_u32 s18, s16, s22
	s_mul_i32 s19, s17, s22
	s_add_i32 s7, s18, s7
	s_mul_i32 s18, s16, s22
	s_add_i32 s19, s7, s19
	s_lshl_b64 s[18:19], s[18:19], 3
	s_add_u32 s18, s20, s18
	s_addc_u32 s19, s21, s19
	s_load_dwordx2 s[18:19], s[18:19], 0x0
	s_waitcnt vmcnt(0) lgkmcnt(0)
	v_mul_f64 v[0:1], v[2:3], s[18:19]
.LBB39_5:
	s_or_b32 exec_lo, exec_lo, s6
	s_waitcnt vmcnt(0)
	v_subrev_nc_u32_e32 v2, s8, v9
	s_waitcnt lgkmcnt(0)
	s_sub_i32 s23, s1, s8
	s_mov_b32 s22, exec_lo
	v_add_nc_u32_e32 v2, s0, v2
	v_cmpx_gt_i32_e64 s23, v2
	s_cbranch_execz .LBB39_45
; %bb.6:
	s_clause 0x1
	s_load_dwordx2 s[18:19], s[4:5], 0x58
	s_load_dwordx4 s[4:7], s[4:5], 0x18
	s_cmp_eq_u32 s10, 0
	v_mov_b32_e32 v10, 0
	s_cselect_b32 s25, -1, 0
	s_add_u32 s20, s16, s8
	s_mov_b32 s24, 0
	s_addc_u32 s21, s17, 0
	s_lshl_b32 s26, s11, 3
	s_branch .LBB39_8
.LBB39_7:                               ;   in Loop: Header=BB39_8 Depth=1
	s_or_b32 exec_lo, exec_lo, s27
	s_and_b32 s0, exec_lo, s0
	s_or_b32 s24, s0, s24
	s_andn2_b32 exec_lo, exec_lo, s24
	s_cbranch_execz .LBB39_44
.LBB39_8:                               ; =>This Loop Header: Depth=1
                                        ;     Child Loop BB39_33 Depth 2
                                        ;       Child Loop BB39_34 Depth 3
	v_ashrrev_i32_e32 v3, 31, v2
	v_lshlrev_b64 v[5:6], 3, v[2:3]
	s_waitcnt lgkmcnt(0)
	v_add_co_u32 v3, vcc_lo, s6, v5
	v_add_co_ci_u32_e64 v4, null, s7, v6, vcc_lo
	v_add_co_u32 v5, vcc_lo, s4, v5
	v_add_co_ci_u32_e64 v6, null, s5, v6, vcc_lo
	global_load_dwordx2 v[3:4], v[3:4], off slc
	global_load_dwordx2 v[5:6], v[5:6], off slc
	s_waitcnt vmcnt(1)
	v_cmp_eq_f64_e64 s1, 0, v[3:4]
	s_waitcnt vmcnt(0)
	v_sub_co_u32 v5, vcc_lo, v5, s8
	v_subrev_co_ci_u32_e64 v6, null, 0, v6, vcc_lo
	v_cmp_eq_u64_e32 vcc_lo, s[16:17], v[5:6]
	v_cmp_ne_u64_e64 s0, s[16:17], v[5:6]
	s_and_b32 s27, s25, vcc_lo
	s_and_b32 s1, s1, s27
	s_and_saveexec_b32 s27, s1
	s_cbranch_execz .LBB39_12
; %bb.9:                                ;   in Loop: Header=BB39_8 Depth=1
	v_mbcnt_lo_u32_b32 v3, exec_lo, 0
	s_mov_b32 s28, exec_lo
	v_cmpx_eq_u32_e32 0, v3
	s_cbranch_execz .LBB39_11
; %bb.10:                               ;   in Loop: Header=BB39_8 Depth=1
	v_mov_b32_e32 v3, s20
	v_mov_b32_e32 v4, s21
	global_atomic_umin_x2 v10, v[3:4], s[18:19]
.LBB39_11:                              ;   in Loop: Header=BB39_8 Depth=1
	s_or_b32 exec_lo, exec_lo, s28
	v_mov_b32_e32 v3, 0
	v_mov_b32_e32 v4, 0x3ff00000
.LBB39_12:                              ;   in Loop: Header=BB39_8 Depth=1
	s_or_b32 exec_lo, exec_lo, s27
	s_mov_b32 s1, -1
	s_mov_b32 s27, 0
	s_cmp_lt_i32 s9, 1
	s_mov_b32 s28, 0
	s_cbranch_scc1 .LBB39_22
; %bb.13:                               ;   in Loop: Header=BB39_8 Depth=1
	s_cmp_eq_u32 s9, 1
	s_mov_b32 s28, -1
	s_cbranch_scc0 .LBB39_21
; %bb.14:                               ;   in Loop: Header=BB39_8 Depth=1
	s_mov_b32 s28, 0
	s_mov_b32 s29, exec_lo
	v_cmpx_le_i64_e64 s[16:17], v[5:6]
	s_cbranch_execz .LBB39_20
; %bb.15:                               ;   in Loop: Header=BB39_8 Depth=1
	s_mov_b32 s28, -1
	s_and_saveexec_b32 s1, vcc_lo
	s_xor_b32 s1, exec_lo, s1
	s_cbranch_execz .LBB39_19
; %bb.16:                               ;   in Loop: Header=BB39_8 Depth=1
	s_andn2_b32 vcc_lo, exec_lo, s25
	s_cbranch_vccnz .LBB39_18
; %bb.17:                               ;   in Loop: Header=BB39_8 Depth=1
	v_div_scale_f64 v[7:8], null, v[3:4], v[3:4], 1.0
	v_rcp_f64_e32 v[11:12], v[7:8]
	v_fma_f64 v[13:14], -v[7:8], v[11:12], 1.0
	v_fma_f64 v[11:12], v[11:12], v[13:14], v[11:12]
	v_fma_f64 v[13:14], -v[7:8], v[11:12], 1.0
	v_fma_f64 v[11:12], v[11:12], v[13:14], v[11:12]
	v_div_scale_f64 v[13:14], vcc_lo, 1.0, v[3:4], 1.0
	v_mul_f64 v[15:16], v[13:14], v[11:12]
	v_fma_f64 v[7:8], -v[7:8], v[15:16], v[13:14]
	v_div_fmas_f64 v[7:8], v[7:8], v[11:12], v[15:16]
	v_mov_b32_e32 v11, s26
	v_div_fixup_f64 v[7:8], v[7:8], v[3:4], 1.0
	ds_write_b64 v11, v[7:8]
.LBB39_18:                              ;   in Loop: Header=BB39_8 Depth=1
	s_xor_b32 s28, exec_lo, -1
.LBB39_19:                              ;   in Loop: Header=BB39_8 Depth=1
	s_or_b32 exec_lo, exec_lo, s1
	s_and_b32 s28, s28, exec_lo
.LBB39_20:                              ;   in Loop: Header=BB39_8 Depth=1
	s_or_b32 exec_lo, exec_lo, s29
.LBB39_21:                              ;   in Loop: Header=BB39_8 Depth=1
	s_mov_b32 s1, 0
.LBB39_22:                              ;   in Loop: Header=BB39_8 Depth=1
	s_and_b32 vcc_lo, exec_lo, s1
	s_mov_b32 s1, 4
	s_cbranch_vccz .LBB39_29
; %bb.23:                               ;   in Loop: Header=BB39_8 Depth=1
	s_cmp_eq_u32 s9, 0
	s_cbranch_scc1 .LBB39_25
; %bb.24:                               ;   in Loop: Header=BB39_8 Depth=1
	s_mov_b32 s28, -1
	s_branch .LBB39_28
.LBB39_25:                              ;   in Loop: Header=BB39_8 Depth=1
	s_mov_b32 s28, 0
	s_mov_b32 s1, exec_lo
	v_cmpx_ge_i64_e64 s[16:17], v[5:6]
; %bb.26:                               ;   in Loop: Header=BB39_8 Depth=1
	s_mov_b32 s27, exec_lo
	s_and_b32 s28, s0, exec_lo
; %bb.27:                               ;   in Loop: Header=BB39_8 Depth=1
	s_or_b32 exec_lo, exec_lo, s1
.LBB39_28:                              ;   in Loop: Header=BB39_8 Depth=1
	s_mov_b32 s1, 2
.LBB39_29:                              ;   in Loop: Header=BB39_8 Depth=1
	v_mov_b32_e32 v8, v1
	v_mov_b32_e32 v11, s1
	;; [unrolled: 1-line block ×3, first 2 shown]
	s_and_saveexec_b32 s0, s28
	s_cbranch_execz .LBB39_36
; %bb.30:                               ;   in Loop: Header=BB39_8 Depth=1
	v_lshlrev_b64 v[7:8], 2, v[5:6]
	s_mov_b32 s1, exec_lo
	v_add_co_u32 v7, vcc_lo, s14, v7
	v_add_co_ci_u32_e64 v8, null, s15, v8, vcc_lo
	global_load_dword v11, v[7:8], off glc dlc
	s_waitcnt vmcnt(0)
	v_cmpx_eq_u32_e32 0, v11
	s_cbranch_execz .LBB39_35
; %bb.31:                               ;   in Loop: Header=BB39_8 Depth=1
	s_mov_b32 s28, 0
	s_mov_b32 s29, 0
	s_branch .LBB39_33
	.p2align	6
.LBB39_32:                              ;   in Loop: Header=BB39_33 Depth=2
	global_load_dword v11, v[7:8], off glc dlc
	s_cmpk_lt_u32 s29, 0xf43
	s_cselect_b32 s30, -1, 0
	s_cmp_lg_u32 s30, 0
	s_addc_u32 s29, s29, 0
	s_waitcnt vmcnt(0)
	v_cmp_ne_u32_e32 vcc_lo, 0, v11
	s_or_b32 s28, vcc_lo, s28
	s_andn2_b32 exec_lo, exec_lo, s28
	s_cbranch_execz .LBB39_35
.LBB39_33:                              ;   Parent Loop BB39_8 Depth=1
                                        ; =>  This Loop Header: Depth=2
                                        ;       Child Loop BB39_34 Depth 3
	s_cmp_eq_u32 s29, 0
	s_mov_b32 s30, s29
	s_cbranch_scc1 .LBB39_32
.LBB39_34:                              ;   Parent Loop BB39_8 Depth=1
                                        ;     Parent Loop BB39_33 Depth=2
                                        ; =>    This Inner Loop Header: Depth=3
	s_add_i32 s30, s30, -1
	s_sleep 1
	s_cmp_eq_u32 s30, 0
	s_cbranch_scc0 .LBB39_34
	s_branch .LBB39_32
.LBB39_35:                              ;   in Loop: Header=BB39_8 Depth=1
	s_or_b32 exec_lo, exec_lo, s1
	v_lshlrev_b64 v[5:6], 3, v[5:6]
	s_waitcnt lgkmcnt(0)
	s_waitcnt_vscnt null, 0x0
	buffer_gl1_inv
	buffer_gl0_inv
	v_mov_b32_e32 v11, 0
	s_andn2_b32 s27, s27, exec_lo
	v_add_co_u32 v5, vcc_lo, s12, v5
	v_add_co_ci_u32_e64 v6, null, s13, v6, vcc_lo
	global_load_dwordx2 v[5:6], v[5:6], off
	s_waitcnt vmcnt(0)
	v_fma_f64 v[7:8], -v[3:4], v[5:6], v[0:1]
.LBB39_36:                              ;   in Loop: Header=BB39_8 Depth=1
	s_or_b32 exec_lo, exec_lo, s0
	s_and_saveexec_b32 s0, s27
	s_cbranch_execz .LBB39_40
; %bb.37:                               ;   in Loop: Header=BB39_8 Depth=1
	s_andn2_b32 vcc_lo, exec_lo, s25
	s_cbranch_vccnz .LBB39_39
; %bb.38:                               ;   in Loop: Header=BB39_8 Depth=1
	v_div_scale_f64 v[5:6], null, v[3:4], v[3:4], 1.0
	v_rcp_f64_e32 v[7:8], v[5:6]
	v_fma_f64 v[11:12], -v[5:6], v[7:8], 1.0
	v_fma_f64 v[7:8], v[7:8], v[11:12], v[7:8]
	v_fma_f64 v[11:12], -v[5:6], v[7:8], 1.0
	v_fma_f64 v[7:8], v[7:8], v[11:12], v[7:8]
	v_div_scale_f64 v[11:12], vcc_lo, 1.0, v[3:4], 1.0
	v_mul_f64 v[13:14], v[11:12], v[7:8]
	v_fma_f64 v[5:6], -v[5:6], v[13:14], v[11:12]
	v_div_fmas_f64 v[5:6], v[5:6], v[7:8], v[13:14]
	v_div_fixup_f64 v[3:4], v[5:6], v[3:4], 1.0
	v_mov_b32_e32 v5, s26
	ds_write_b64 v5, v[3:4]
.LBB39_39:                              ;   in Loop: Header=BB39_8 Depth=1
	v_mov_b32_e32 v8, v1
	v_mov_b32_e32 v11, 2
	v_mov_b32_e32 v7, v0
.LBB39_40:                              ;   in Loop: Header=BB39_8 Depth=1
	s_or_b32 exec_lo, exec_lo, s0
	v_mov_b32_e32 v0, v7
	v_mov_b32_e32 v1, v8
	s_mov_b32 s0, -1
	s_mov_b32 s1, -1
	s_mov_b32 s27, exec_lo
	v_cmpx_gt_i32_e32 4, v11
; %bb.41:                               ;   in Loop: Header=BB39_8 Depth=1
	v_cmp_eq_u32_e32 vcc_lo, 0, v11
	s_orn2_b32 s1, vcc_lo, exec_lo
; %bb.42:                               ;   in Loop: Header=BB39_8 Depth=1
	s_or_b32 exec_lo, exec_lo, s27
	s_and_saveexec_b32 s27, s1
	s_cbranch_execz .LBB39_7
; %bb.43:                               ;   in Loop: Header=BB39_8 Depth=1
	v_add_nc_u32_e32 v2, 64, v2
	v_cmp_le_i32_e32 vcc_lo, s23, v2
	s_orn2_b32 s0, vcc_lo, exec_lo
	s_branch .LBB39_7
.LBB39_44:
	s_or_b32 exec_lo, exec_lo, s24
.LBB39_45:
	s_or_b32 exec_lo, exec_lo, s22
	v_mbcnt_lo_u32_b32 v4, -1, 0
	s_cmp_lg_u32 s10, 0
	v_or_b32_e32 v2, 32, v4
	v_cmp_gt_i32_e32 vcc_lo, 32, v2
	v_cndmask_b32_e32 v2, v4, v2, vcc_lo
	v_lshlrev_b32_e32 v3, 2, v2
	ds_bpermute_b32 v2, v3, v0
	ds_bpermute_b32 v3, v3, v1
	s_waitcnt lgkmcnt(0)
	v_add_f64 v[0:1], v[0:1], v[2:3]
	v_xor_b32_e32 v2, 16, v4
	v_cmp_gt_i32_e32 vcc_lo, 32, v2
	v_cndmask_b32_e32 v2, v4, v2, vcc_lo
	v_lshlrev_b32_e32 v3, 2, v2
	ds_bpermute_b32 v2, v3, v0
	ds_bpermute_b32 v3, v3, v1
	s_waitcnt lgkmcnt(0)
	v_add_f64 v[0:1], v[0:1], v[2:3]
	v_xor_b32_e32 v2, 8, v4
	;; [unrolled: 8-line block ×5, first 2 shown]
	v_cmp_gt_i32_e32 vcc_lo, 32, v2
	v_cndmask_b32_e32 v2, v4, v2, vcc_lo
	v_lshlrev_b32_e32 v3, 2, v2
	ds_bpermute_b32 v2, v3, v0
	ds_bpermute_b32 v3, v3, v1
	s_waitcnt lgkmcnt(0)
	v_add_f64 v[0:1], v[0:1], v[2:3]
	s_cbranch_scc1 .LBB39_47
; %bb.46:
	s_lshl_b32 s0, s11, 3
	s_waitcnt_vscnt null, 0x0
	buffer_gl0_inv
	v_mov_b32_e32 v2, s0
	ds_read_b64 v[2:3], v2
	s_waitcnt lgkmcnt(0)
	v_mul_f64 v[0:1], v[0:1], v[2:3]
.LBB39_47:
	s_mov_b32 s0, exec_lo
	v_cmpx_eq_u32_e32 63, v9
	s_cbranch_execz .LBB39_49
; %bb.48:
	s_lshl_b64 s[0:1], s[16:17], 3
	v_mov_b32_e32 v2, 0
	s_add_u32 s0, s12, s0
	v_mov_b32_e32 v3, 1
	s_addc_u32 s1, s13, s1
	s_add_u32 s2, s14, s2
	s_addc_u32 s3, s15, s3
	global_store_dwordx2 v2, v[0:1], s[0:1] glc slc
	s_waitcnt_vscnt null, 0x0
	global_store_dword v2, v3, s[2:3]
.LBB39_49:
	s_endpgm
	.section	.rodata,"a",@progbits
	.p2align	6, 0x0
	.amdhsa_kernel _ZN9rocsparseL12csrsv_kernelILj1024ELj64ELb1EildEEvT3_NS_24const_host_device_scalarIT4_EEPKT2_PKS1_PKS3_SB_lPS3_PiS9_iPS1_21rocsparse_index_base_20rocsparse_fill_mode_20rocsparse_diag_type_b
		.amdhsa_group_segment_fixed_size 128
		.amdhsa_private_segment_fixed_size 0
		.amdhsa_kernarg_size 112
		.amdhsa_user_sgpr_count 6
		.amdhsa_user_sgpr_private_segment_buffer 1
		.amdhsa_user_sgpr_dispatch_ptr 0
		.amdhsa_user_sgpr_queue_ptr 0
		.amdhsa_user_sgpr_kernarg_segment_ptr 1
		.amdhsa_user_sgpr_dispatch_id 0
		.amdhsa_user_sgpr_flat_scratch_init 0
		.amdhsa_user_sgpr_private_segment_size 0
		.amdhsa_wavefront_size32 1
		.amdhsa_uses_dynamic_stack 0
		.amdhsa_system_sgpr_private_segment_wavefront_offset 0
		.amdhsa_system_sgpr_workgroup_id_x 1
		.amdhsa_system_sgpr_workgroup_id_y 0
		.amdhsa_system_sgpr_workgroup_id_z 0
		.amdhsa_system_sgpr_workgroup_info 0
		.amdhsa_system_vgpr_workitem_id 0
		.amdhsa_next_free_vgpr 17
		.amdhsa_next_free_sgpr 31
		.amdhsa_reserve_vcc 1
		.amdhsa_reserve_flat_scratch 0
		.amdhsa_float_round_mode_32 0
		.amdhsa_float_round_mode_16_64 0
		.amdhsa_float_denorm_mode_32 3
		.amdhsa_float_denorm_mode_16_64 3
		.amdhsa_dx10_clamp 1
		.amdhsa_ieee_mode 1
		.amdhsa_fp16_overflow 0
		.amdhsa_workgroup_processor_mode 1
		.amdhsa_memory_ordered 1
		.amdhsa_forward_progress 1
		.amdhsa_shared_vgpr_count 0
		.amdhsa_exception_fp_ieee_invalid_op 0
		.amdhsa_exception_fp_denorm_src 0
		.amdhsa_exception_fp_ieee_div_zero 0
		.amdhsa_exception_fp_ieee_overflow 0
		.amdhsa_exception_fp_ieee_underflow 0
		.amdhsa_exception_fp_ieee_inexact 0
		.amdhsa_exception_int_div_zero 0
	.end_amdhsa_kernel
	.section	.text._ZN9rocsparseL12csrsv_kernelILj1024ELj64ELb1EildEEvT3_NS_24const_host_device_scalarIT4_EEPKT2_PKS1_PKS3_SB_lPS3_PiS9_iPS1_21rocsparse_index_base_20rocsparse_fill_mode_20rocsparse_diag_type_b,"axG",@progbits,_ZN9rocsparseL12csrsv_kernelILj1024ELj64ELb1EildEEvT3_NS_24const_host_device_scalarIT4_EEPKT2_PKS1_PKS3_SB_lPS3_PiS9_iPS1_21rocsparse_index_base_20rocsparse_fill_mode_20rocsparse_diag_type_b,comdat
.Lfunc_end39:
	.size	_ZN9rocsparseL12csrsv_kernelILj1024ELj64ELb1EildEEvT3_NS_24const_host_device_scalarIT4_EEPKT2_PKS1_PKS3_SB_lPS3_PiS9_iPS1_21rocsparse_index_base_20rocsparse_fill_mode_20rocsparse_diag_type_b, .Lfunc_end39-_ZN9rocsparseL12csrsv_kernelILj1024ELj64ELb1EildEEvT3_NS_24const_host_device_scalarIT4_EEPKT2_PKS1_PKS3_SB_lPS3_PiS9_iPS1_21rocsparse_index_base_20rocsparse_fill_mode_20rocsparse_diag_type_b
                                        ; -- End function
	.set _ZN9rocsparseL12csrsv_kernelILj1024ELj64ELb1EildEEvT3_NS_24const_host_device_scalarIT4_EEPKT2_PKS1_PKS3_SB_lPS3_PiS9_iPS1_21rocsparse_index_base_20rocsparse_fill_mode_20rocsparse_diag_type_b.num_vgpr, 17
	.set _ZN9rocsparseL12csrsv_kernelILj1024ELj64ELb1EildEEvT3_NS_24const_host_device_scalarIT4_EEPKT2_PKS1_PKS3_SB_lPS3_PiS9_iPS1_21rocsparse_index_base_20rocsparse_fill_mode_20rocsparse_diag_type_b.num_agpr, 0
	.set _ZN9rocsparseL12csrsv_kernelILj1024ELj64ELb1EildEEvT3_NS_24const_host_device_scalarIT4_EEPKT2_PKS1_PKS3_SB_lPS3_PiS9_iPS1_21rocsparse_index_base_20rocsparse_fill_mode_20rocsparse_diag_type_b.numbered_sgpr, 31
	.set _ZN9rocsparseL12csrsv_kernelILj1024ELj64ELb1EildEEvT3_NS_24const_host_device_scalarIT4_EEPKT2_PKS1_PKS3_SB_lPS3_PiS9_iPS1_21rocsparse_index_base_20rocsparse_fill_mode_20rocsparse_diag_type_b.num_named_barrier, 0
	.set _ZN9rocsparseL12csrsv_kernelILj1024ELj64ELb1EildEEvT3_NS_24const_host_device_scalarIT4_EEPKT2_PKS1_PKS3_SB_lPS3_PiS9_iPS1_21rocsparse_index_base_20rocsparse_fill_mode_20rocsparse_diag_type_b.private_seg_size, 0
	.set _ZN9rocsparseL12csrsv_kernelILj1024ELj64ELb1EildEEvT3_NS_24const_host_device_scalarIT4_EEPKT2_PKS1_PKS3_SB_lPS3_PiS9_iPS1_21rocsparse_index_base_20rocsparse_fill_mode_20rocsparse_diag_type_b.uses_vcc, 1
	.set _ZN9rocsparseL12csrsv_kernelILj1024ELj64ELb1EildEEvT3_NS_24const_host_device_scalarIT4_EEPKT2_PKS1_PKS3_SB_lPS3_PiS9_iPS1_21rocsparse_index_base_20rocsparse_fill_mode_20rocsparse_diag_type_b.uses_flat_scratch, 0
	.set _ZN9rocsparseL12csrsv_kernelILj1024ELj64ELb1EildEEvT3_NS_24const_host_device_scalarIT4_EEPKT2_PKS1_PKS3_SB_lPS3_PiS9_iPS1_21rocsparse_index_base_20rocsparse_fill_mode_20rocsparse_diag_type_b.has_dyn_sized_stack, 0
	.set _ZN9rocsparseL12csrsv_kernelILj1024ELj64ELb1EildEEvT3_NS_24const_host_device_scalarIT4_EEPKT2_PKS1_PKS3_SB_lPS3_PiS9_iPS1_21rocsparse_index_base_20rocsparse_fill_mode_20rocsparse_diag_type_b.has_recursion, 0
	.set _ZN9rocsparseL12csrsv_kernelILj1024ELj64ELb1EildEEvT3_NS_24const_host_device_scalarIT4_EEPKT2_PKS1_PKS3_SB_lPS3_PiS9_iPS1_21rocsparse_index_base_20rocsparse_fill_mode_20rocsparse_diag_type_b.has_indirect_call, 0
	.section	.AMDGPU.csdata,"",@progbits
; Kernel info:
; codeLenInByte = 1700
; TotalNumSgprs: 33
; NumVgprs: 17
; ScratchSize: 0
; MemoryBound: 0
; FloatMode: 240
; IeeeMode: 1
; LDSByteSize: 128 bytes/workgroup (compile time only)
; SGPRBlocks: 0
; VGPRBlocks: 2
; NumSGPRsForWavesPerEU: 33
; NumVGPRsForWavesPerEU: 17
; Occupancy: 16
; WaveLimiterHint : 1
; COMPUTE_PGM_RSRC2:SCRATCH_EN: 0
; COMPUTE_PGM_RSRC2:USER_SGPR: 6
; COMPUTE_PGM_RSRC2:TRAP_HANDLER: 0
; COMPUTE_PGM_RSRC2:TGID_X_EN: 1
; COMPUTE_PGM_RSRC2:TGID_Y_EN: 0
; COMPUTE_PGM_RSRC2:TGID_Z_EN: 0
; COMPUTE_PGM_RSRC2:TIDIG_COMP_CNT: 0
	.section	.text._ZN9rocsparseL12csrsv_kernelILj1024ELj32ELb0EildEEvT3_NS_24const_host_device_scalarIT4_EEPKT2_PKS1_PKS3_SB_lPS3_PiS9_iPS1_21rocsparse_index_base_20rocsparse_fill_mode_20rocsparse_diag_type_b,"axG",@progbits,_ZN9rocsparseL12csrsv_kernelILj1024ELj32ELb0EildEEvT3_NS_24const_host_device_scalarIT4_EEPKT2_PKS1_PKS3_SB_lPS3_PiS9_iPS1_21rocsparse_index_base_20rocsparse_fill_mode_20rocsparse_diag_type_b,comdat
	.globl	_ZN9rocsparseL12csrsv_kernelILj1024ELj32ELb0EildEEvT3_NS_24const_host_device_scalarIT4_EEPKT2_PKS1_PKS3_SB_lPS3_PiS9_iPS1_21rocsparse_index_base_20rocsparse_fill_mode_20rocsparse_diag_type_b ; -- Begin function _ZN9rocsparseL12csrsv_kernelILj1024ELj32ELb0EildEEvT3_NS_24const_host_device_scalarIT4_EEPKT2_PKS1_PKS3_SB_lPS3_PiS9_iPS1_21rocsparse_index_base_20rocsparse_fill_mode_20rocsparse_diag_type_b
	.p2align	8
	.type	_ZN9rocsparseL12csrsv_kernelILj1024ELj32ELb0EildEEvT3_NS_24const_host_device_scalarIT4_EEPKT2_PKS1_PKS3_SB_lPS3_PiS9_iPS1_21rocsparse_index_base_20rocsparse_fill_mode_20rocsparse_diag_type_b,@function
_ZN9rocsparseL12csrsv_kernelILj1024ELj32ELb0EildEEvT3_NS_24const_host_device_scalarIT4_EEPKT2_PKS1_PKS3_SB_lPS3_PiS9_iPS1_21rocsparse_index_base_20rocsparse_fill_mode_20rocsparse_diag_type_b: ; @_ZN9rocsparseL12csrsv_kernelILj1024ELj32ELb0EildEEvT3_NS_24const_host_device_scalarIT4_EEPKT2_PKS1_PKS3_SB_lPS3_PiS9_iPS1_21rocsparse_index_base_20rocsparse_fill_mode_20rocsparse_diag_type_b
; %bb.0:
	s_clause 0x1
	s_load_dwordx4 s[8:11], s[4:5], 0x60
	s_load_dwordx4 s[0:3], s[4:5], 0x0
	s_waitcnt lgkmcnt(0)
	s_bitcmp1_b32 s11, 0
	v_mov_b32_e32 v2, s2
	v_mov_b32_e32 v3, s3
	s_cselect_b32 s7, -1, 0
	s_and_b32 vcc_lo, exec_lo, s7
	s_cbranch_vccnz .LBB40_2
; %bb.1:
	v_mov_b32_e32 v1, s2
	v_mov_b32_e32 v2, s3
	flat_load_dwordx2 v[2:3], v[1:2]
.LBB40_2:
	v_readfirstlane_b32 s2, v0
	s_lshl_b32 s3, s6, 5
	s_lshr_b32 s11, s2, 5
	s_add_i32 s2, s11, s3
	s_mov_b32 s3, 0
	v_cmp_le_i64_e64 s0, s[0:1], s[2:3]
	s_and_b32 vcc_lo, exec_lo, s0
	s_cbranch_vccnz .LBB40_47
; %bb.3:
	s_clause 0x1
	s_load_dword s0, s[4:5], 0x50
	s_load_dwordx2 s[6:7], s[4:5], 0x48
	s_lshl_b64 s[2:3], s[2:3], 3
	v_and_b32_e32 v9, 31, v0
	v_mov_b32_e32 v0, 0
	v_mov_b32_e32 v1, 0
	s_waitcnt lgkmcnt(0)
	s_ashr_i32 s1, s0, 31
	s_add_u32 s2, s6, s2
	s_addc_u32 s3, s7, s3
	s_lshl_b64 s[0:1], s[0:1], 3
	s_mov_b32 s6, exec_lo
	s_add_u32 s0, s2, s0
	s_addc_u32 s1, s3, s1
	s_load_dwordx2 s[16:17], s[0:1], 0x0
	s_load_dwordx2 s[0:1], s[4:5], 0x10
	s_waitcnt lgkmcnt(0)
	s_lshl_b64 s[2:3], s[16:17], 2
	s_add_u32 s0, s0, s2
	s_addc_u32 s1, s1, s3
	s_load_dwordx4 s[12:15], s[4:5], 0x38
	s_load_dwordx2 s[0:1], s[0:1], 0x0
	v_cmpx_eq_u32_e32 0, v9
	s_cbranch_execz .LBB40_5
; %bb.4:
	s_load_dwordx4 s[20:23], s[4:5], 0x28
	s_waitcnt lgkmcnt(0)
	s_mul_i32 s7, s16, s23
	s_mul_hi_u32 s18, s16, s22
	s_mul_i32 s19, s17, s22
	s_add_i32 s7, s18, s7
	s_mul_i32 s18, s16, s22
	s_add_i32 s19, s7, s19
	s_lshl_b64 s[18:19], s[18:19], 3
	s_add_u32 s18, s20, s18
	s_addc_u32 s19, s21, s19
	s_load_dwordx2 s[18:19], s[18:19], 0x0
	s_waitcnt vmcnt(0) lgkmcnt(0)
	v_mul_f64 v[0:1], v[2:3], s[18:19]
.LBB40_5:
	s_or_b32 exec_lo, exec_lo, s6
	s_waitcnt vmcnt(0)
	v_subrev_nc_u32_e32 v2, s8, v9
	s_waitcnt lgkmcnt(0)
	s_sub_i32 s23, s1, s8
	s_mov_b32 s22, exec_lo
	v_add_nc_u32_e32 v2, s0, v2
	v_cmpx_gt_i32_e64 s23, v2
	s_cbranch_execz .LBB40_43
; %bb.6:
	s_clause 0x1
	s_load_dwordx2 s[18:19], s[4:5], 0x58
	s_load_dwordx4 s[4:7], s[4:5], 0x18
	s_cmp_eq_u32 s10, 0
	v_mov_b32_e32 v10, 0
	s_cselect_b32 s25, -1, 0
	s_add_u32 s20, s16, s8
	s_mov_b32 s24, 0
	s_addc_u32 s21, s17, 0
	s_lshl_b32 s26, s11, 3
	s_branch .LBB40_8
.LBB40_7:                               ;   in Loop: Header=BB40_8 Depth=1
	s_or_b32 exec_lo, exec_lo, s27
	s_and_b32 s0, exec_lo, s0
	s_or_b32 s24, s0, s24
	s_andn2_b32 exec_lo, exec_lo, s24
	s_cbranch_execz .LBB40_42
.LBB40_8:                               ; =>This Loop Header: Depth=1
                                        ;     Child Loop BB40_32 Depth 2
	v_ashrrev_i32_e32 v3, 31, v2
	v_lshlrev_b64 v[5:6], 3, v[2:3]
	s_waitcnt lgkmcnt(0)
	v_add_co_u32 v3, vcc_lo, s6, v5
	v_add_co_ci_u32_e64 v4, null, s7, v6, vcc_lo
	v_add_co_u32 v5, vcc_lo, s4, v5
	v_add_co_ci_u32_e64 v6, null, s5, v6, vcc_lo
	global_load_dwordx2 v[3:4], v[3:4], off slc
	global_load_dwordx2 v[5:6], v[5:6], off slc
	s_waitcnt vmcnt(1)
	v_cmp_eq_f64_e64 s1, 0, v[3:4]
	s_waitcnt vmcnt(0)
	v_sub_co_u32 v5, vcc_lo, v5, s8
	v_subrev_co_ci_u32_e64 v6, null, 0, v6, vcc_lo
	v_cmp_eq_u64_e32 vcc_lo, s[16:17], v[5:6]
	v_cmp_ne_u64_e64 s0, s[16:17], v[5:6]
	s_and_b32 s27, s25, vcc_lo
	s_and_b32 s1, s1, s27
	s_and_saveexec_b32 s27, s1
	s_cbranch_execz .LBB40_12
; %bb.9:                                ;   in Loop: Header=BB40_8 Depth=1
	v_mbcnt_lo_u32_b32 v3, exec_lo, 0
	s_mov_b32 s28, exec_lo
	v_cmpx_eq_u32_e32 0, v3
	s_cbranch_execz .LBB40_11
; %bb.10:                               ;   in Loop: Header=BB40_8 Depth=1
	v_mov_b32_e32 v3, s20
	v_mov_b32_e32 v4, s21
	global_atomic_umin_x2 v10, v[3:4], s[18:19]
.LBB40_11:                              ;   in Loop: Header=BB40_8 Depth=1
	s_or_b32 exec_lo, exec_lo, s28
	v_mov_b32_e32 v3, 0
	v_mov_b32_e32 v4, 0x3ff00000
.LBB40_12:                              ;   in Loop: Header=BB40_8 Depth=1
	s_or_b32 exec_lo, exec_lo, s27
	s_mov_b32 s1, -1
	s_mov_b32 s27, 0
	s_cmp_lt_i32 s9, 1
	s_mov_b32 s28, 0
	s_cbranch_scc1 .LBB40_22
; %bb.13:                               ;   in Loop: Header=BB40_8 Depth=1
	s_cmp_eq_u32 s9, 1
	s_mov_b32 s28, -1
	s_cbranch_scc0 .LBB40_21
; %bb.14:                               ;   in Loop: Header=BB40_8 Depth=1
	s_mov_b32 s28, 0
	s_mov_b32 s29, exec_lo
	v_cmpx_le_i64_e64 s[16:17], v[5:6]
	s_cbranch_execz .LBB40_20
; %bb.15:                               ;   in Loop: Header=BB40_8 Depth=1
	s_mov_b32 s28, -1
	s_and_saveexec_b32 s1, vcc_lo
	s_xor_b32 s1, exec_lo, s1
	s_cbranch_execz .LBB40_19
; %bb.16:                               ;   in Loop: Header=BB40_8 Depth=1
	s_andn2_b32 vcc_lo, exec_lo, s25
	s_cbranch_vccnz .LBB40_18
; %bb.17:                               ;   in Loop: Header=BB40_8 Depth=1
	v_div_scale_f64 v[7:8], null, v[3:4], v[3:4], 1.0
	v_rcp_f64_e32 v[11:12], v[7:8]
	v_fma_f64 v[13:14], -v[7:8], v[11:12], 1.0
	v_fma_f64 v[11:12], v[11:12], v[13:14], v[11:12]
	v_fma_f64 v[13:14], -v[7:8], v[11:12], 1.0
	v_fma_f64 v[11:12], v[11:12], v[13:14], v[11:12]
	v_div_scale_f64 v[13:14], vcc_lo, 1.0, v[3:4], 1.0
	v_mul_f64 v[15:16], v[13:14], v[11:12]
	v_fma_f64 v[7:8], -v[7:8], v[15:16], v[13:14]
	v_div_fmas_f64 v[7:8], v[7:8], v[11:12], v[15:16]
	v_mov_b32_e32 v11, s26
	v_div_fixup_f64 v[7:8], v[7:8], v[3:4], 1.0
	ds_write_b64 v11, v[7:8]
.LBB40_18:                              ;   in Loop: Header=BB40_8 Depth=1
	s_xor_b32 s28, exec_lo, -1
.LBB40_19:                              ;   in Loop: Header=BB40_8 Depth=1
	s_or_b32 exec_lo, exec_lo, s1
	s_and_b32 s28, s28, exec_lo
.LBB40_20:                              ;   in Loop: Header=BB40_8 Depth=1
	s_or_b32 exec_lo, exec_lo, s29
.LBB40_21:                              ;   in Loop: Header=BB40_8 Depth=1
	s_mov_b32 s1, 0
.LBB40_22:                              ;   in Loop: Header=BB40_8 Depth=1
	s_and_b32 vcc_lo, exec_lo, s1
	s_mov_b32 s1, 4
	s_cbranch_vccz .LBB40_29
; %bb.23:                               ;   in Loop: Header=BB40_8 Depth=1
	s_cmp_eq_u32 s9, 0
	s_cbranch_scc1 .LBB40_25
; %bb.24:                               ;   in Loop: Header=BB40_8 Depth=1
	s_mov_b32 s28, -1
	s_branch .LBB40_28
.LBB40_25:                              ;   in Loop: Header=BB40_8 Depth=1
	s_mov_b32 s28, 0
	s_mov_b32 s1, exec_lo
	v_cmpx_ge_i64_e64 s[16:17], v[5:6]
; %bb.26:                               ;   in Loop: Header=BB40_8 Depth=1
	s_mov_b32 s27, exec_lo
	s_and_b32 s28, s0, exec_lo
; %bb.27:                               ;   in Loop: Header=BB40_8 Depth=1
	s_or_b32 exec_lo, exec_lo, s1
.LBB40_28:                              ;   in Loop: Header=BB40_8 Depth=1
	s_mov_b32 s1, 2
.LBB40_29:                              ;   in Loop: Header=BB40_8 Depth=1
	v_mov_b32_e32 v8, v1
	v_mov_b32_e32 v11, s1
	;; [unrolled: 1-line block ×3, first 2 shown]
	s_and_saveexec_b32 s0, s28
	s_cbranch_execz .LBB40_34
; %bb.30:                               ;   in Loop: Header=BB40_8 Depth=1
	v_lshlrev_b64 v[7:8], 2, v[5:6]
	s_mov_b32 s1, exec_lo
	v_add_co_u32 v7, vcc_lo, s14, v7
	v_add_co_ci_u32_e64 v8, null, s15, v8, vcc_lo
	global_load_dword v11, v[7:8], off glc dlc
	s_waitcnt vmcnt(0)
	v_cmpx_eq_u32_e32 0, v11
	s_cbranch_execz .LBB40_33
; %bb.31:                               ;   in Loop: Header=BB40_8 Depth=1
	s_mov_b32 s28, 0
.LBB40_32:                              ;   Parent Loop BB40_8 Depth=1
                                        ; =>  This Inner Loop Header: Depth=2
	global_load_dword v11, v[7:8], off glc dlc
	s_waitcnt vmcnt(0)
	v_cmp_ne_u32_e32 vcc_lo, 0, v11
	s_or_b32 s28, vcc_lo, s28
	s_andn2_b32 exec_lo, exec_lo, s28
	s_cbranch_execnz .LBB40_32
.LBB40_33:                              ;   in Loop: Header=BB40_8 Depth=1
	s_or_b32 exec_lo, exec_lo, s1
	v_lshlrev_b64 v[5:6], 3, v[5:6]
	s_waitcnt lgkmcnt(0)
	s_waitcnt_vscnt null, 0x0
	buffer_gl1_inv
	buffer_gl0_inv
	v_mov_b32_e32 v11, 0
	s_andn2_b32 s27, s27, exec_lo
	v_add_co_u32 v5, vcc_lo, s12, v5
	v_add_co_ci_u32_e64 v6, null, s13, v6, vcc_lo
	global_load_dwordx2 v[5:6], v[5:6], off
	s_waitcnt vmcnt(0)
	v_fma_f64 v[7:8], -v[3:4], v[5:6], v[0:1]
.LBB40_34:                              ;   in Loop: Header=BB40_8 Depth=1
	s_or_b32 exec_lo, exec_lo, s0
	s_and_saveexec_b32 s0, s27
	s_cbranch_execz .LBB40_38
; %bb.35:                               ;   in Loop: Header=BB40_8 Depth=1
	s_andn2_b32 vcc_lo, exec_lo, s25
	s_cbranch_vccnz .LBB40_37
; %bb.36:                               ;   in Loop: Header=BB40_8 Depth=1
	v_div_scale_f64 v[5:6], null, v[3:4], v[3:4], 1.0
	v_rcp_f64_e32 v[7:8], v[5:6]
	v_fma_f64 v[11:12], -v[5:6], v[7:8], 1.0
	v_fma_f64 v[7:8], v[7:8], v[11:12], v[7:8]
	v_fma_f64 v[11:12], -v[5:6], v[7:8], 1.0
	v_fma_f64 v[7:8], v[7:8], v[11:12], v[7:8]
	v_div_scale_f64 v[11:12], vcc_lo, 1.0, v[3:4], 1.0
	v_mul_f64 v[13:14], v[11:12], v[7:8]
	v_fma_f64 v[5:6], -v[5:6], v[13:14], v[11:12]
	v_div_fmas_f64 v[5:6], v[5:6], v[7:8], v[13:14]
	v_div_fixup_f64 v[3:4], v[5:6], v[3:4], 1.0
	v_mov_b32_e32 v5, s26
	ds_write_b64 v5, v[3:4]
.LBB40_37:                              ;   in Loop: Header=BB40_8 Depth=1
	v_mov_b32_e32 v8, v1
	v_mov_b32_e32 v11, 2
	v_mov_b32_e32 v7, v0
.LBB40_38:                              ;   in Loop: Header=BB40_8 Depth=1
	s_or_b32 exec_lo, exec_lo, s0
	v_mov_b32_e32 v0, v7
	v_mov_b32_e32 v1, v8
	s_mov_b32 s0, -1
	s_mov_b32 s1, -1
	s_mov_b32 s27, exec_lo
	v_cmpx_gt_i32_e32 4, v11
; %bb.39:                               ;   in Loop: Header=BB40_8 Depth=1
	v_cmp_eq_u32_e32 vcc_lo, 0, v11
	s_orn2_b32 s1, vcc_lo, exec_lo
; %bb.40:                               ;   in Loop: Header=BB40_8 Depth=1
	s_or_b32 exec_lo, exec_lo, s27
	s_and_saveexec_b32 s27, s1
	s_cbranch_execz .LBB40_7
; %bb.41:                               ;   in Loop: Header=BB40_8 Depth=1
	v_add_nc_u32_e32 v2, 32, v2
	v_cmp_le_i32_e32 vcc_lo, s23, v2
	s_orn2_b32 s0, vcc_lo, exec_lo
	s_branch .LBB40_7
.LBB40_42:
	s_or_b32 exec_lo, exec_lo, s24
.LBB40_43:
	s_or_b32 exec_lo, exec_lo, s22
	v_mbcnt_lo_u32_b32 v4, -1, 0
	s_cmp_lg_u32 s10, 0
	v_xor_b32_e32 v2, 16, v4
	v_cmp_gt_i32_e32 vcc_lo, 32, v2
	v_cndmask_b32_e32 v2, v4, v2, vcc_lo
	v_lshlrev_b32_e32 v3, 2, v2
	ds_bpermute_b32 v2, v3, v0
	ds_bpermute_b32 v3, v3, v1
	s_waitcnt lgkmcnt(0)
	v_add_f64 v[0:1], v[0:1], v[2:3]
	v_xor_b32_e32 v2, 8, v4
	v_cmp_gt_i32_e32 vcc_lo, 32, v2
	v_cndmask_b32_e32 v2, v4, v2, vcc_lo
	v_lshlrev_b32_e32 v3, 2, v2
	ds_bpermute_b32 v2, v3, v0
	ds_bpermute_b32 v3, v3, v1
	s_waitcnt lgkmcnt(0)
	v_add_f64 v[0:1], v[0:1], v[2:3]
	;; [unrolled: 8-line block ×5, first 2 shown]
	s_cbranch_scc1 .LBB40_45
; %bb.44:
	s_lshl_b32 s0, s11, 3
	s_waitcnt_vscnt null, 0x0
	buffer_gl0_inv
	v_mov_b32_e32 v2, s0
	ds_read_b64 v[2:3], v2
	s_waitcnt lgkmcnt(0)
	v_mul_f64 v[0:1], v[0:1], v[2:3]
.LBB40_45:
	s_mov_b32 s0, exec_lo
	v_cmpx_eq_u32_e32 31, v9
	s_cbranch_execz .LBB40_47
; %bb.46:
	s_lshl_b64 s[0:1], s[16:17], 3
	v_mov_b32_e32 v2, 0
	s_add_u32 s0, s12, s0
	v_mov_b32_e32 v3, 1
	s_addc_u32 s1, s13, s1
	s_add_u32 s2, s14, s2
	s_addc_u32 s3, s15, s3
	global_store_dwordx2 v2, v[0:1], s[0:1] glc slc
	s_waitcnt_vscnt null, 0x0
	global_store_dword v2, v3, s[2:3]
.LBB40_47:
	s_endpgm
	.section	.rodata,"a",@progbits
	.p2align	6, 0x0
	.amdhsa_kernel _ZN9rocsparseL12csrsv_kernelILj1024ELj32ELb0EildEEvT3_NS_24const_host_device_scalarIT4_EEPKT2_PKS1_PKS3_SB_lPS3_PiS9_iPS1_21rocsparse_index_base_20rocsparse_fill_mode_20rocsparse_diag_type_b
		.amdhsa_group_segment_fixed_size 256
		.amdhsa_private_segment_fixed_size 0
		.amdhsa_kernarg_size 112
		.amdhsa_user_sgpr_count 6
		.amdhsa_user_sgpr_private_segment_buffer 1
		.amdhsa_user_sgpr_dispatch_ptr 0
		.amdhsa_user_sgpr_queue_ptr 0
		.amdhsa_user_sgpr_kernarg_segment_ptr 1
		.amdhsa_user_sgpr_dispatch_id 0
		.amdhsa_user_sgpr_flat_scratch_init 0
		.amdhsa_user_sgpr_private_segment_size 0
		.amdhsa_wavefront_size32 1
		.amdhsa_uses_dynamic_stack 0
		.amdhsa_system_sgpr_private_segment_wavefront_offset 0
		.amdhsa_system_sgpr_workgroup_id_x 1
		.amdhsa_system_sgpr_workgroup_id_y 0
		.amdhsa_system_sgpr_workgroup_id_z 0
		.amdhsa_system_sgpr_workgroup_info 0
		.amdhsa_system_vgpr_workitem_id 0
		.amdhsa_next_free_vgpr 17
		.amdhsa_next_free_sgpr 30
		.amdhsa_reserve_vcc 1
		.amdhsa_reserve_flat_scratch 0
		.amdhsa_float_round_mode_32 0
		.amdhsa_float_round_mode_16_64 0
		.amdhsa_float_denorm_mode_32 3
		.amdhsa_float_denorm_mode_16_64 3
		.amdhsa_dx10_clamp 1
		.amdhsa_ieee_mode 1
		.amdhsa_fp16_overflow 0
		.amdhsa_workgroup_processor_mode 1
		.amdhsa_memory_ordered 1
		.amdhsa_forward_progress 1
		.amdhsa_shared_vgpr_count 0
		.amdhsa_exception_fp_ieee_invalid_op 0
		.amdhsa_exception_fp_denorm_src 0
		.amdhsa_exception_fp_ieee_div_zero 0
		.amdhsa_exception_fp_ieee_overflow 0
		.amdhsa_exception_fp_ieee_underflow 0
		.amdhsa_exception_fp_ieee_inexact 0
		.amdhsa_exception_int_div_zero 0
	.end_amdhsa_kernel
	.section	.text._ZN9rocsparseL12csrsv_kernelILj1024ELj32ELb0EildEEvT3_NS_24const_host_device_scalarIT4_EEPKT2_PKS1_PKS3_SB_lPS3_PiS9_iPS1_21rocsparse_index_base_20rocsparse_fill_mode_20rocsparse_diag_type_b,"axG",@progbits,_ZN9rocsparseL12csrsv_kernelILj1024ELj32ELb0EildEEvT3_NS_24const_host_device_scalarIT4_EEPKT2_PKS1_PKS3_SB_lPS3_PiS9_iPS1_21rocsparse_index_base_20rocsparse_fill_mode_20rocsparse_diag_type_b,comdat
.Lfunc_end40:
	.size	_ZN9rocsparseL12csrsv_kernelILj1024ELj32ELb0EildEEvT3_NS_24const_host_device_scalarIT4_EEPKT2_PKS1_PKS3_SB_lPS3_PiS9_iPS1_21rocsparse_index_base_20rocsparse_fill_mode_20rocsparse_diag_type_b, .Lfunc_end40-_ZN9rocsparseL12csrsv_kernelILj1024ELj32ELb0EildEEvT3_NS_24const_host_device_scalarIT4_EEPKT2_PKS1_PKS3_SB_lPS3_PiS9_iPS1_21rocsparse_index_base_20rocsparse_fill_mode_20rocsparse_diag_type_b
                                        ; -- End function
	.set _ZN9rocsparseL12csrsv_kernelILj1024ELj32ELb0EildEEvT3_NS_24const_host_device_scalarIT4_EEPKT2_PKS1_PKS3_SB_lPS3_PiS9_iPS1_21rocsparse_index_base_20rocsparse_fill_mode_20rocsparse_diag_type_b.num_vgpr, 17
	.set _ZN9rocsparseL12csrsv_kernelILj1024ELj32ELb0EildEEvT3_NS_24const_host_device_scalarIT4_EEPKT2_PKS1_PKS3_SB_lPS3_PiS9_iPS1_21rocsparse_index_base_20rocsparse_fill_mode_20rocsparse_diag_type_b.num_agpr, 0
	.set _ZN9rocsparseL12csrsv_kernelILj1024ELj32ELb0EildEEvT3_NS_24const_host_device_scalarIT4_EEPKT2_PKS1_PKS3_SB_lPS3_PiS9_iPS1_21rocsparse_index_base_20rocsparse_fill_mode_20rocsparse_diag_type_b.numbered_sgpr, 30
	.set _ZN9rocsparseL12csrsv_kernelILj1024ELj32ELb0EildEEvT3_NS_24const_host_device_scalarIT4_EEPKT2_PKS1_PKS3_SB_lPS3_PiS9_iPS1_21rocsparse_index_base_20rocsparse_fill_mode_20rocsparse_diag_type_b.num_named_barrier, 0
	.set _ZN9rocsparseL12csrsv_kernelILj1024ELj32ELb0EildEEvT3_NS_24const_host_device_scalarIT4_EEPKT2_PKS1_PKS3_SB_lPS3_PiS9_iPS1_21rocsparse_index_base_20rocsparse_fill_mode_20rocsparse_diag_type_b.private_seg_size, 0
	.set _ZN9rocsparseL12csrsv_kernelILj1024ELj32ELb0EildEEvT3_NS_24const_host_device_scalarIT4_EEPKT2_PKS1_PKS3_SB_lPS3_PiS9_iPS1_21rocsparse_index_base_20rocsparse_fill_mode_20rocsparse_diag_type_b.uses_vcc, 1
	.set _ZN9rocsparseL12csrsv_kernelILj1024ELj32ELb0EildEEvT3_NS_24const_host_device_scalarIT4_EEPKT2_PKS1_PKS3_SB_lPS3_PiS9_iPS1_21rocsparse_index_base_20rocsparse_fill_mode_20rocsparse_diag_type_b.uses_flat_scratch, 0
	.set _ZN9rocsparseL12csrsv_kernelILj1024ELj32ELb0EildEEvT3_NS_24const_host_device_scalarIT4_EEPKT2_PKS1_PKS3_SB_lPS3_PiS9_iPS1_21rocsparse_index_base_20rocsparse_fill_mode_20rocsparse_diag_type_b.has_dyn_sized_stack, 0
	.set _ZN9rocsparseL12csrsv_kernelILj1024ELj32ELb0EildEEvT3_NS_24const_host_device_scalarIT4_EEPKT2_PKS1_PKS3_SB_lPS3_PiS9_iPS1_21rocsparse_index_base_20rocsparse_fill_mode_20rocsparse_diag_type_b.has_recursion, 0
	.set _ZN9rocsparseL12csrsv_kernelILj1024ELj32ELb0EildEEvT3_NS_24const_host_device_scalarIT4_EEPKT2_PKS1_PKS3_SB_lPS3_PiS9_iPS1_21rocsparse_index_base_20rocsparse_fill_mode_20rocsparse_diag_type_b.has_indirect_call, 0
	.section	.AMDGPU.csdata,"",@progbits
; Kernel info:
; codeLenInByte = 1556
; TotalNumSgprs: 32
; NumVgprs: 17
; ScratchSize: 0
; MemoryBound: 0
; FloatMode: 240
; IeeeMode: 1
; LDSByteSize: 256 bytes/workgroup (compile time only)
; SGPRBlocks: 0
; VGPRBlocks: 2
; NumSGPRsForWavesPerEU: 32
; NumVGPRsForWavesPerEU: 17
; Occupancy: 16
; WaveLimiterHint : 1
; COMPUTE_PGM_RSRC2:SCRATCH_EN: 0
; COMPUTE_PGM_RSRC2:USER_SGPR: 6
; COMPUTE_PGM_RSRC2:TRAP_HANDLER: 0
; COMPUTE_PGM_RSRC2:TGID_X_EN: 1
; COMPUTE_PGM_RSRC2:TGID_Y_EN: 0
; COMPUTE_PGM_RSRC2:TGID_Z_EN: 0
; COMPUTE_PGM_RSRC2:TIDIG_COMP_CNT: 0
	.section	.text._ZN9rocsparseL12csrsv_kernelILj1024ELj64ELb0EildEEvT3_NS_24const_host_device_scalarIT4_EEPKT2_PKS1_PKS3_SB_lPS3_PiS9_iPS1_21rocsparse_index_base_20rocsparse_fill_mode_20rocsparse_diag_type_b,"axG",@progbits,_ZN9rocsparseL12csrsv_kernelILj1024ELj64ELb0EildEEvT3_NS_24const_host_device_scalarIT4_EEPKT2_PKS1_PKS3_SB_lPS3_PiS9_iPS1_21rocsparse_index_base_20rocsparse_fill_mode_20rocsparse_diag_type_b,comdat
	.globl	_ZN9rocsparseL12csrsv_kernelILj1024ELj64ELb0EildEEvT3_NS_24const_host_device_scalarIT4_EEPKT2_PKS1_PKS3_SB_lPS3_PiS9_iPS1_21rocsparse_index_base_20rocsparse_fill_mode_20rocsparse_diag_type_b ; -- Begin function _ZN9rocsparseL12csrsv_kernelILj1024ELj64ELb0EildEEvT3_NS_24const_host_device_scalarIT4_EEPKT2_PKS1_PKS3_SB_lPS3_PiS9_iPS1_21rocsparse_index_base_20rocsparse_fill_mode_20rocsparse_diag_type_b
	.p2align	8
	.type	_ZN9rocsparseL12csrsv_kernelILj1024ELj64ELb0EildEEvT3_NS_24const_host_device_scalarIT4_EEPKT2_PKS1_PKS3_SB_lPS3_PiS9_iPS1_21rocsparse_index_base_20rocsparse_fill_mode_20rocsparse_diag_type_b,@function
_ZN9rocsparseL12csrsv_kernelILj1024ELj64ELb0EildEEvT3_NS_24const_host_device_scalarIT4_EEPKT2_PKS1_PKS3_SB_lPS3_PiS9_iPS1_21rocsparse_index_base_20rocsparse_fill_mode_20rocsparse_diag_type_b: ; @_ZN9rocsparseL12csrsv_kernelILj1024ELj64ELb0EildEEvT3_NS_24const_host_device_scalarIT4_EEPKT2_PKS1_PKS3_SB_lPS3_PiS9_iPS1_21rocsparse_index_base_20rocsparse_fill_mode_20rocsparse_diag_type_b
; %bb.0:
	s_clause 0x1
	s_load_dwordx4 s[8:11], s[4:5], 0x60
	s_load_dwordx4 s[0:3], s[4:5], 0x0
	s_waitcnt lgkmcnt(0)
	s_bitcmp1_b32 s11, 0
	v_mov_b32_e32 v2, s2
	v_mov_b32_e32 v3, s3
	s_cselect_b32 s7, -1, 0
	s_and_b32 vcc_lo, exec_lo, s7
	s_cbranch_vccnz .LBB41_2
; %bb.1:
	v_mov_b32_e32 v1, s2
	v_mov_b32_e32 v2, s3
	flat_load_dwordx2 v[2:3], v[1:2]
.LBB41_2:
	v_readfirstlane_b32 s2, v0
	s_lshl_b32 s3, s6, 4
	s_lshr_b32 s11, s2, 6
	s_add_i32 s2, s11, s3
	s_mov_b32 s3, 0
	v_cmp_le_i64_e64 s0, s[0:1], s[2:3]
	s_and_b32 vcc_lo, exec_lo, s0
	s_cbranch_vccnz .LBB41_47
; %bb.3:
	s_clause 0x1
	s_load_dword s0, s[4:5], 0x50
	s_load_dwordx2 s[6:7], s[4:5], 0x48
	s_lshl_b64 s[2:3], s[2:3], 3
	v_and_b32_e32 v9, 63, v0
	v_mov_b32_e32 v0, 0
	v_mov_b32_e32 v1, 0
	s_waitcnt lgkmcnt(0)
	s_ashr_i32 s1, s0, 31
	s_add_u32 s2, s6, s2
	s_addc_u32 s3, s7, s3
	s_lshl_b64 s[0:1], s[0:1], 3
	s_mov_b32 s6, exec_lo
	s_add_u32 s0, s2, s0
	s_addc_u32 s1, s3, s1
	s_load_dwordx2 s[16:17], s[0:1], 0x0
	s_load_dwordx2 s[0:1], s[4:5], 0x10
	s_waitcnt lgkmcnt(0)
	s_lshl_b64 s[2:3], s[16:17], 2
	s_add_u32 s0, s0, s2
	s_addc_u32 s1, s1, s3
	s_load_dwordx4 s[12:15], s[4:5], 0x38
	s_load_dwordx2 s[0:1], s[0:1], 0x0
	v_cmpx_eq_u32_e32 0, v9
	s_cbranch_execz .LBB41_5
; %bb.4:
	s_load_dwordx4 s[20:23], s[4:5], 0x28
	s_waitcnt lgkmcnt(0)
	s_mul_i32 s7, s16, s23
	s_mul_hi_u32 s18, s16, s22
	s_mul_i32 s19, s17, s22
	s_add_i32 s7, s18, s7
	s_mul_i32 s18, s16, s22
	s_add_i32 s19, s7, s19
	s_lshl_b64 s[18:19], s[18:19], 3
	s_add_u32 s18, s20, s18
	s_addc_u32 s19, s21, s19
	s_load_dwordx2 s[18:19], s[18:19], 0x0
	s_waitcnt vmcnt(0) lgkmcnt(0)
	v_mul_f64 v[0:1], v[2:3], s[18:19]
.LBB41_5:
	s_or_b32 exec_lo, exec_lo, s6
	s_waitcnt vmcnt(0)
	v_subrev_nc_u32_e32 v2, s8, v9
	s_waitcnt lgkmcnt(0)
	s_sub_i32 s23, s1, s8
	s_mov_b32 s22, exec_lo
	v_add_nc_u32_e32 v2, s0, v2
	v_cmpx_gt_i32_e64 s23, v2
	s_cbranch_execz .LBB41_43
; %bb.6:
	s_clause 0x1
	s_load_dwordx2 s[18:19], s[4:5], 0x58
	s_load_dwordx4 s[4:7], s[4:5], 0x18
	s_cmp_eq_u32 s10, 0
	v_mov_b32_e32 v10, 0
	s_cselect_b32 s25, -1, 0
	s_add_u32 s20, s16, s8
	s_mov_b32 s24, 0
	s_addc_u32 s21, s17, 0
	s_lshl_b32 s26, s11, 3
	s_branch .LBB41_8
.LBB41_7:                               ;   in Loop: Header=BB41_8 Depth=1
	s_or_b32 exec_lo, exec_lo, s27
	s_and_b32 s0, exec_lo, s0
	s_or_b32 s24, s0, s24
	s_andn2_b32 exec_lo, exec_lo, s24
	s_cbranch_execz .LBB41_42
.LBB41_8:                               ; =>This Loop Header: Depth=1
                                        ;     Child Loop BB41_32 Depth 2
	v_ashrrev_i32_e32 v3, 31, v2
	v_lshlrev_b64 v[5:6], 3, v[2:3]
	s_waitcnt lgkmcnt(0)
	v_add_co_u32 v3, vcc_lo, s6, v5
	v_add_co_ci_u32_e64 v4, null, s7, v6, vcc_lo
	v_add_co_u32 v5, vcc_lo, s4, v5
	v_add_co_ci_u32_e64 v6, null, s5, v6, vcc_lo
	global_load_dwordx2 v[3:4], v[3:4], off slc
	global_load_dwordx2 v[5:6], v[5:6], off slc
	s_waitcnt vmcnt(1)
	v_cmp_eq_f64_e64 s1, 0, v[3:4]
	s_waitcnt vmcnt(0)
	v_sub_co_u32 v5, vcc_lo, v5, s8
	v_subrev_co_ci_u32_e64 v6, null, 0, v6, vcc_lo
	v_cmp_eq_u64_e32 vcc_lo, s[16:17], v[5:6]
	v_cmp_ne_u64_e64 s0, s[16:17], v[5:6]
	s_and_b32 s27, s25, vcc_lo
	s_and_b32 s1, s1, s27
	s_and_saveexec_b32 s27, s1
	s_cbranch_execz .LBB41_12
; %bb.9:                                ;   in Loop: Header=BB41_8 Depth=1
	v_mbcnt_lo_u32_b32 v3, exec_lo, 0
	s_mov_b32 s28, exec_lo
	v_cmpx_eq_u32_e32 0, v3
	s_cbranch_execz .LBB41_11
; %bb.10:                               ;   in Loop: Header=BB41_8 Depth=1
	v_mov_b32_e32 v3, s20
	v_mov_b32_e32 v4, s21
	global_atomic_umin_x2 v10, v[3:4], s[18:19]
.LBB41_11:                              ;   in Loop: Header=BB41_8 Depth=1
	s_or_b32 exec_lo, exec_lo, s28
	v_mov_b32_e32 v3, 0
	v_mov_b32_e32 v4, 0x3ff00000
.LBB41_12:                              ;   in Loop: Header=BB41_8 Depth=1
	s_or_b32 exec_lo, exec_lo, s27
	s_mov_b32 s1, -1
	s_mov_b32 s27, 0
	s_cmp_lt_i32 s9, 1
	s_mov_b32 s28, 0
	s_cbranch_scc1 .LBB41_22
; %bb.13:                               ;   in Loop: Header=BB41_8 Depth=1
	s_cmp_eq_u32 s9, 1
	s_mov_b32 s28, -1
	s_cbranch_scc0 .LBB41_21
; %bb.14:                               ;   in Loop: Header=BB41_8 Depth=1
	s_mov_b32 s28, 0
	s_mov_b32 s29, exec_lo
	v_cmpx_le_i64_e64 s[16:17], v[5:6]
	s_cbranch_execz .LBB41_20
; %bb.15:                               ;   in Loop: Header=BB41_8 Depth=1
	s_mov_b32 s28, -1
	s_and_saveexec_b32 s1, vcc_lo
	s_xor_b32 s1, exec_lo, s1
	s_cbranch_execz .LBB41_19
; %bb.16:                               ;   in Loop: Header=BB41_8 Depth=1
	s_andn2_b32 vcc_lo, exec_lo, s25
	s_cbranch_vccnz .LBB41_18
; %bb.17:                               ;   in Loop: Header=BB41_8 Depth=1
	v_div_scale_f64 v[7:8], null, v[3:4], v[3:4], 1.0
	v_rcp_f64_e32 v[11:12], v[7:8]
	v_fma_f64 v[13:14], -v[7:8], v[11:12], 1.0
	v_fma_f64 v[11:12], v[11:12], v[13:14], v[11:12]
	v_fma_f64 v[13:14], -v[7:8], v[11:12], 1.0
	v_fma_f64 v[11:12], v[11:12], v[13:14], v[11:12]
	v_div_scale_f64 v[13:14], vcc_lo, 1.0, v[3:4], 1.0
	v_mul_f64 v[15:16], v[13:14], v[11:12]
	v_fma_f64 v[7:8], -v[7:8], v[15:16], v[13:14]
	v_div_fmas_f64 v[7:8], v[7:8], v[11:12], v[15:16]
	v_mov_b32_e32 v11, s26
	v_div_fixup_f64 v[7:8], v[7:8], v[3:4], 1.0
	ds_write_b64 v11, v[7:8]
.LBB41_18:                              ;   in Loop: Header=BB41_8 Depth=1
	s_xor_b32 s28, exec_lo, -1
.LBB41_19:                              ;   in Loop: Header=BB41_8 Depth=1
	s_or_b32 exec_lo, exec_lo, s1
	s_and_b32 s28, s28, exec_lo
.LBB41_20:                              ;   in Loop: Header=BB41_8 Depth=1
	s_or_b32 exec_lo, exec_lo, s29
.LBB41_21:                              ;   in Loop: Header=BB41_8 Depth=1
	s_mov_b32 s1, 0
.LBB41_22:                              ;   in Loop: Header=BB41_8 Depth=1
	s_and_b32 vcc_lo, exec_lo, s1
	s_mov_b32 s1, 4
	s_cbranch_vccz .LBB41_29
; %bb.23:                               ;   in Loop: Header=BB41_8 Depth=1
	s_cmp_eq_u32 s9, 0
	s_cbranch_scc1 .LBB41_25
; %bb.24:                               ;   in Loop: Header=BB41_8 Depth=1
	s_mov_b32 s28, -1
	s_branch .LBB41_28
.LBB41_25:                              ;   in Loop: Header=BB41_8 Depth=1
	s_mov_b32 s28, 0
	s_mov_b32 s1, exec_lo
	v_cmpx_ge_i64_e64 s[16:17], v[5:6]
; %bb.26:                               ;   in Loop: Header=BB41_8 Depth=1
	s_mov_b32 s27, exec_lo
	s_and_b32 s28, s0, exec_lo
; %bb.27:                               ;   in Loop: Header=BB41_8 Depth=1
	s_or_b32 exec_lo, exec_lo, s1
.LBB41_28:                              ;   in Loop: Header=BB41_8 Depth=1
	s_mov_b32 s1, 2
.LBB41_29:                              ;   in Loop: Header=BB41_8 Depth=1
	v_mov_b32_e32 v8, v1
	v_mov_b32_e32 v11, s1
	;; [unrolled: 1-line block ×3, first 2 shown]
	s_and_saveexec_b32 s0, s28
	s_cbranch_execz .LBB41_34
; %bb.30:                               ;   in Loop: Header=BB41_8 Depth=1
	v_lshlrev_b64 v[7:8], 2, v[5:6]
	s_mov_b32 s1, exec_lo
	v_add_co_u32 v7, vcc_lo, s14, v7
	v_add_co_ci_u32_e64 v8, null, s15, v8, vcc_lo
	global_load_dword v11, v[7:8], off glc dlc
	s_waitcnt vmcnt(0)
	v_cmpx_eq_u32_e32 0, v11
	s_cbranch_execz .LBB41_33
; %bb.31:                               ;   in Loop: Header=BB41_8 Depth=1
	s_mov_b32 s28, 0
.LBB41_32:                              ;   Parent Loop BB41_8 Depth=1
                                        ; =>  This Inner Loop Header: Depth=2
	global_load_dword v11, v[7:8], off glc dlc
	s_waitcnt vmcnt(0)
	v_cmp_ne_u32_e32 vcc_lo, 0, v11
	s_or_b32 s28, vcc_lo, s28
	s_andn2_b32 exec_lo, exec_lo, s28
	s_cbranch_execnz .LBB41_32
.LBB41_33:                              ;   in Loop: Header=BB41_8 Depth=1
	s_or_b32 exec_lo, exec_lo, s1
	v_lshlrev_b64 v[5:6], 3, v[5:6]
	s_waitcnt lgkmcnt(0)
	s_waitcnt_vscnt null, 0x0
	buffer_gl1_inv
	buffer_gl0_inv
	v_mov_b32_e32 v11, 0
	s_andn2_b32 s27, s27, exec_lo
	v_add_co_u32 v5, vcc_lo, s12, v5
	v_add_co_ci_u32_e64 v6, null, s13, v6, vcc_lo
	global_load_dwordx2 v[5:6], v[5:6], off
	s_waitcnt vmcnt(0)
	v_fma_f64 v[7:8], -v[3:4], v[5:6], v[0:1]
.LBB41_34:                              ;   in Loop: Header=BB41_8 Depth=1
	s_or_b32 exec_lo, exec_lo, s0
	s_and_saveexec_b32 s0, s27
	s_cbranch_execz .LBB41_38
; %bb.35:                               ;   in Loop: Header=BB41_8 Depth=1
	s_andn2_b32 vcc_lo, exec_lo, s25
	s_cbranch_vccnz .LBB41_37
; %bb.36:                               ;   in Loop: Header=BB41_8 Depth=1
	v_div_scale_f64 v[5:6], null, v[3:4], v[3:4], 1.0
	v_rcp_f64_e32 v[7:8], v[5:6]
	v_fma_f64 v[11:12], -v[5:6], v[7:8], 1.0
	v_fma_f64 v[7:8], v[7:8], v[11:12], v[7:8]
	v_fma_f64 v[11:12], -v[5:6], v[7:8], 1.0
	v_fma_f64 v[7:8], v[7:8], v[11:12], v[7:8]
	v_div_scale_f64 v[11:12], vcc_lo, 1.0, v[3:4], 1.0
	v_mul_f64 v[13:14], v[11:12], v[7:8]
	v_fma_f64 v[5:6], -v[5:6], v[13:14], v[11:12]
	v_div_fmas_f64 v[5:6], v[5:6], v[7:8], v[13:14]
	v_div_fixup_f64 v[3:4], v[5:6], v[3:4], 1.0
	v_mov_b32_e32 v5, s26
	ds_write_b64 v5, v[3:4]
.LBB41_37:                              ;   in Loop: Header=BB41_8 Depth=1
	v_mov_b32_e32 v8, v1
	v_mov_b32_e32 v11, 2
	;; [unrolled: 1-line block ×3, first 2 shown]
.LBB41_38:                              ;   in Loop: Header=BB41_8 Depth=1
	s_or_b32 exec_lo, exec_lo, s0
	v_mov_b32_e32 v0, v7
	v_mov_b32_e32 v1, v8
	s_mov_b32 s0, -1
	s_mov_b32 s1, -1
	s_mov_b32 s27, exec_lo
	v_cmpx_gt_i32_e32 4, v11
; %bb.39:                               ;   in Loop: Header=BB41_8 Depth=1
	v_cmp_eq_u32_e32 vcc_lo, 0, v11
	s_orn2_b32 s1, vcc_lo, exec_lo
; %bb.40:                               ;   in Loop: Header=BB41_8 Depth=1
	s_or_b32 exec_lo, exec_lo, s27
	s_and_saveexec_b32 s27, s1
	s_cbranch_execz .LBB41_7
; %bb.41:                               ;   in Loop: Header=BB41_8 Depth=1
	v_add_nc_u32_e32 v2, 64, v2
	v_cmp_le_i32_e32 vcc_lo, s23, v2
	s_orn2_b32 s0, vcc_lo, exec_lo
	s_branch .LBB41_7
.LBB41_42:
	s_or_b32 exec_lo, exec_lo, s24
.LBB41_43:
	s_or_b32 exec_lo, exec_lo, s22
	v_mbcnt_lo_u32_b32 v4, -1, 0
	s_cmp_lg_u32 s10, 0
	v_or_b32_e32 v2, 32, v4
	v_cmp_gt_i32_e32 vcc_lo, 32, v2
	v_cndmask_b32_e32 v2, v4, v2, vcc_lo
	v_lshlrev_b32_e32 v3, 2, v2
	ds_bpermute_b32 v2, v3, v0
	ds_bpermute_b32 v3, v3, v1
	s_waitcnt lgkmcnt(0)
	v_add_f64 v[0:1], v[0:1], v[2:3]
	v_xor_b32_e32 v2, 16, v4
	v_cmp_gt_i32_e32 vcc_lo, 32, v2
	v_cndmask_b32_e32 v2, v4, v2, vcc_lo
	v_lshlrev_b32_e32 v3, 2, v2
	ds_bpermute_b32 v2, v3, v0
	ds_bpermute_b32 v3, v3, v1
	s_waitcnt lgkmcnt(0)
	v_add_f64 v[0:1], v[0:1], v[2:3]
	v_xor_b32_e32 v2, 8, v4
	;; [unrolled: 8-line block ×5, first 2 shown]
	v_cmp_gt_i32_e32 vcc_lo, 32, v2
	v_cndmask_b32_e32 v2, v4, v2, vcc_lo
	v_lshlrev_b32_e32 v3, 2, v2
	ds_bpermute_b32 v2, v3, v0
	ds_bpermute_b32 v3, v3, v1
	s_waitcnt lgkmcnt(0)
	v_add_f64 v[0:1], v[0:1], v[2:3]
	s_cbranch_scc1 .LBB41_45
; %bb.44:
	s_lshl_b32 s0, s11, 3
	s_waitcnt_vscnt null, 0x0
	buffer_gl0_inv
	v_mov_b32_e32 v2, s0
	ds_read_b64 v[2:3], v2
	s_waitcnt lgkmcnt(0)
	v_mul_f64 v[0:1], v[0:1], v[2:3]
.LBB41_45:
	s_mov_b32 s0, exec_lo
	v_cmpx_eq_u32_e32 63, v9
	s_cbranch_execz .LBB41_47
; %bb.46:
	s_lshl_b64 s[0:1], s[16:17], 3
	v_mov_b32_e32 v2, 0
	s_add_u32 s0, s12, s0
	v_mov_b32_e32 v3, 1
	s_addc_u32 s1, s13, s1
	s_add_u32 s2, s14, s2
	s_addc_u32 s3, s15, s3
	global_store_dwordx2 v2, v[0:1], s[0:1] glc slc
	s_waitcnt_vscnt null, 0x0
	global_store_dword v2, v3, s[2:3]
.LBB41_47:
	s_endpgm
	.section	.rodata,"a",@progbits
	.p2align	6, 0x0
	.amdhsa_kernel _ZN9rocsparseL12csrsv_kernelILj1024ELj64ELb0EildEEvT3_NS_24const_host_device_scalarIT4_EEPKT2_PKS1_PKS3_SB_lPS3_PiS9_iPS1_21rocsparse_index_base_20rocsparse_fill_mode_20rocsparse_diag_type_b
		.amdhsa_group_segment_fixed_size 128
		.amdhsa_private_segment_fixed_size 0
		.amdhsa_kernarg_size 112
		.amdhsa_user_sgpr_count 6
		.amdhsa_user_sgpr_private_segment_buffer 1
		.amdhsa_user_sgpr_dispatch_ptr 0
		.amdhsa_user_sgpr_queue_ptr 0
		.amdhsa_user_sgpr_kernarg_segment_ptr 1
		.amdhsa_user_sgpr_dispatch_id 0
		.amdhsa_user_sgpr_flat_scratch_init 0
		.amdhsa_user_sgpr_private_segment_size 0
		.amdhsa_wavefront_size32 1
		.amdhsa_uses_dynamic_stack 0
		.amdhsa_system_sgpr_private_segment_wavefront_offset 0
		.amdhsa_system_sgpr_workgroup_id_x 1
		.amdhsa_system_sgpr_workgroup_id_y 0
		.amdhsa_system_sgpr_workgroup_id_z 0
		.amdhsa_system_sgpr_workgroup_info 0
		.amdhsa_system_vgpr_workitem_id 0
		.amdhsa_next_free_vgpr 17
		.amdhsa_next_free_sgpr 30
		.amdhsa_reserve_vcc 1
		.amdhsa_reserve_flat_scratch 0
		.amdhsa_float_round_mode_32 0
		.amdhsa_float_round_mode_16_64 0
		.amdhsa_float_denorm_mode_32 3
		.amdhsa_float_denorm_mode_16_64 3
		.amdhsa_dx10_clamp 1
		.amdhsa_ieee_mode 1
		.amdhsa_fp16_overflow 0
		.amdhsa_workgroup_processor_mode 1
		.amdhsa_memory_ordered 1
		.amdhsa_forward_progress 1
		.amdhsa_shared_vgpr_count 0
		.amdhsa_exception_fp_ieee_invalid_op 0
		.amdhsa_exception_fp_denorm_src 0
		.amdhsa_exception_fp_ieee_div_zero 0
		.amdhsa_exception_fp_ieee_overflow 0
		.amdhsa_exception_fp_ieee_underflow 0
		.amdhsa_exception_fp_ieee_inexact 0
		.amdhsa_exception_int_div_zero 0
	.end_amdhsa_kernel
	.section	.text._ZN9rocsparseL12csrsv_kernelILj1024ELj64ELb0EildEEvT3_NS_24const_host_device_scalarIT4_EEPKT2_PKS1_PKS3_SB_lPS3_PiS9_iPS1_21rocsparse_index_base_20rocsparse_fill_mode_20rocsparse_diag_type_b,"axG",@progbits,_ZN9rocsparseL12csrsv_kernelILj1024ELj64ELb0EildEEvT3_NS_24const_host_device_scalarIT4_EEPKT2_PKS1_PKS3_SB_lPS3_PiS9_iPS1_21rocsparse_index_base_20rocsparse_fill_mode_20rocsparse_diag_type_b,comdat
.Lfunc_end41:
	.size	_ZN9rocsparseL12csrsv_kernelILj1024ELj64ELb0EildEEvT3_NS_24const_host_device_scalarIT4_EEPKT2_PKS1_PKS3_SB_lPS3_PiS9_iPS1_21rocsparse_index_base_20rocsparse_fill_mode_20rocsparse_diag_type_b, .Lfunc_end41-_ZN9rocsparseL12csrsv_kernelILj1024ELj64ELb0EildEEvT3_NS_24const_host_device_scalarIT4_EEPKT2_PKS1_PKS3_SB_lPS3_PiS9_iPS1_21rocsparse_index_base_20rocsparse_fill_mode_20rocsparse_diag_type_b
                                        ; -- End function
	.set _ZN9rocsparseL12csrsv_kernelILj1024ELj64ELb0EildEEvT3_NS_24const_host_device_scalarIT4_EEPKT2_PKS1_PKS3_SB_lPS3_PiS9_iPS1_21rocsparse_index_base_20rocsparse_fill_mode_20rocsparse_diag_type_b.num_vgpr, 17
	.set _ZN9rocsparseL12csrsv_kernelILj1024ELj64ELb0EildEEvT3_NS_24const_host_device_scalarIT4_EEPKT2_PKS1_PKS3_SB_lPS3_PiS9_iPS1_21rocsparse_index_base_20rocsparse_fill_mode_20rocsparse_diag_type_b.num_agpr, 0
	.set _ZN9rocsparseL12csrsv_kernelILj1024ELj64ELb0EildEEvT3_NS_24const_host_device_scalarIT4_EEPKT2_PKS1_PKS3_SB_lPS3_PiS9_iPS1_21rocsparse_index_base_20rocsparse_fill_mode_20rocsparse_diag_type_b.numbered_sgpr, 30
	.set _ZN9rocsparseL12csrsv_kernelILj1024ELj64ELb0EildEEvT3_NS_24const_host_device_scalarIT4_EEPKT2_PKS1_PKS3_SB_lPS3_PiS9_iPS1_21rocsparse_index_base_20rocsparse_fill_mode_20rocsparse_diag_type_b.num_named_barrier, 0
	.set _ZN9rocsparseL12csrsv_kernelILj1024ELj64ELb0EildEEvT3_NS_24const_host_device_scalarIT4_EEPKT2_PKS1_PKS3_SB_lPS3_PiS9_iPS1_21rocsparse_index_base_20rocsparse_fill_mode_20rocsparse_diag_type_b.private_seg_size, 0
	.set _ZN9rocsparseL12csrsv_kernelILj1024ELj64ELb0EildEEvT3_NS_24const_host_device_scalarIT4_EEPKT2_PKS1_PKS3_SB_lPS3_PiS9_iPS1_21rocsparse_index_base_20rocsparse_fill_mode_20rocsparse_diag_type_b.uses_vcc, 1
	.set _ZN9rocsparseL12csrsv_kernelILj1024ELj64ELb0EildEEvT3_NS_24const_host_device_scalarIT4_EEPKT2_PKS1_PKS3_SB_lPS3_PiS9_iPS1_21rocsparse_index_base_20rocsparse_fill_mode_20rocsparse_diag_type_b.uses_flat_scratch, 0
	.set _ZN9rocsparseL12csrsv_kernelILj1024ELj64ELb0EildEEvT3_NS_24const_host_device_scalarIT4_EEPKT2_PKS1_PKS3_SB_lPS3_PiS9_iPS1_21rocsparse_index_base_20rocsparse_fill_mode_20rocsparse_diag_type_b.has_dyn_sized_stack, 0
	.set _ZN9rocsparseL12csrsv_kernelILj1024ELj64ELb0EildEEvT3_NS_24const_host_device_scalarIT4_EEPKT2_PKS1_PKS3_SB_lPS3_PiS9_iPS1_21rocsparse_index_base_20rocsparse_fill_mode_20rocsparse_diag_type_b.has_recursion, 0
	.set _ZN9rocsparseL12csrsv_kernelILj1024ELj64ELb0EildEEvT3_NS_24const_host_device_scalarIT4_EEPKT2_PKS1_PKS3_SB_lPS3_PiS9_iPS1_21rocsparse_index_base_20rocsparse_fill_mode_20rocsparse_diag_type_b.has_indirect_call, 0
	.section	.AMDGPU.csdata,"",@progbits
; Kernel info:
; codeLenInByte = 1600
; TotalNumSgprs: 32
; NumVgprs: 17
; ScratchSize: 0
; MemoryBound: 0
; FloatMode: 240
; IeeeMode: 1
; LDSByteSize: 128 bytes/workgroup (compile time only)
; SGPRBlocks: 0
; VGPRBlocks: 2
; NumSGPRsForWavesPerEU: 32
; NumVGPRsForWavesPerEU: 17
; Occupancy: 16
; WaveLimiterHint : 1
; COMPUTE_PGM_RSRC2:SCRATCH_EN: 0
; COMPUTE_PGM_RSRC2:USER_SGPR: 6
; COMPUTE_PGM_RSRC2:TRAP_HANDLER: 0
; COMPUTE_PGM_RSRC2:TGID_X_EN: 1
; COMPUTE_PGM_RSRC2:TGID_Y_EN: 0
; COMPUTE_PGM_RSRC2:TGID_Z_EN: 0
; COMPUTE_PGM_RSRC2:TIDIG_COMP_CNT: 0
	.section	.text._ZN9rocsparseL12csrsv_kernelILj1024ELj64ELb1Eil21rocsparse_complex_numIfEEEvT3_NS_24const_host_device_scalarIT4_EEPKT2_PKS3_PKS5_SD_lPS5_PiSB_iPS3_21rocsparse_index_base_20rocsparse_fill_mode_20rocsparse_diag_type_b,"axG",@progbits,_ZN9rocsparseL12csrsv_kernelILj1024ELj64ELb1Eil21rocsparse_complex_numIfEEEvT3_NS_24const_host_device_scalarIT4_EEPKT2_PKS3_PKS5_SD_lPS5_PiSB_iPS3_21rocsparse_index_base_20rocsparse_fill_mode_20rocsparse_diag_type_b,comdat
	.globl	_ZN9rocsparseL12csrsv_kernelILj1024ELj64ELb1Eil21rocsparse_complex_numIfEEEvT3_NS_24const_host_device_scalarIT4_EEPKT2_PKS3_PKS5_SD_lPS5_PiSB_iPS3_21rocsparse_index_base_20rocsparse_fill_mode_20rocsparse_diag_type_b ; -- Begin function _ZN9rocsparseL12csrsv_kernelILj1024ELj64ELb1Eil21rocsparse_complex_numIfEEEvT3_NS_24const_host_device_scalarIT4_EEPKT2_PKS3_PKS5_SD_lPS5_PiSB_iPS3_21rocsparse_index_base_20rocsparse_fill_mode_20rocsparse_diag_type_b
	.p2align	8
	.type	_ZN9rocsparseL12csrsv_kernelILj1024ELj64ELb1Eil21rocsparse_complex_numIfEEEvT3_NS_24const_host_device_scalarIT4_EEPKT2_PKS3_PKS5_SD_lPS5_PiSB_iPS3_21rocsparse_index_base_20rocsparse_fill_mode_20rocsparse_diag_type_b,@function
_ZN9rocsparseL12csrsv_kernelILj1024ELj64ELb1Eil21rocsparse_complex_numIfEEEvT3_NS_24const_host_device_scalarIT4_EEPKT2_PKS3_PKS5_SD_lPS5_PiSB_iPS3_21rocsparse_index_base_20rocsparse_fill_mode_20rocsparse_diag_type_b: ; @_ZN9rocsparseL12csrsv_kernelILj1024ELj64ELb1Eil21rocsparse_complex_numIfEEEvT3_NS_24const_host_device_scalarIT4_EEPKT2_PKS3_PKS5_SD_lPS5_PiSB_iPS3_21rocsparse_index_base_20rocsparse_fill_mode_20rocsparse_diag_type_b
; %bb.0:
	s_clause 0x1
	s_load_dwordx4 s[8:11], s[4:5], 0x60
	s_load_dwordx4 s[0:3], s[4:5], 0x0
	s_waitcnt lgkmcnt(0)
	s_bitcmp1_b32 s11, 0
	s_mov_b32 s20, s2
	s_cselect_b32 s11, -1, 0
	s_xor_b32 s7, s11, -1
	s_and_b32 vcc_lo, exec_lo, s11
	s_cbranch_vccnz .LBB42_2
; %bb.1:
	s_load_dword s20, s[2:3], 0x0
.LBB42_2:
	s_andn2_b32 vcc_lo, exec_lo, s7
	s_cbranch_vccnz .LBB42_4
; %bb.3:
	s_load_dword s3, s[2:3], 0x4
.LBB42_4:
	v_readfirstlane_b32 s2, v0
	s_lshl_b32 s6, s6, 4
	s_mov_b32 s7, 0
	s_lshr_b32 s11, s2, 6
	s_add_i32 s6, s11, s6
	v_cmp_le_i64_e64 s0, s[0:1], s[6:7]
	s_and_b32 vcc_lo, exec_lo, s0
	s_cbranch_vccnz .LBB42_51
; %bb.5:
	s_clause 0x1
	s_load_dword s0, s[4:5], 0x50
	s_load_dwordx2 s[12:13], s[4:5], 0x48
	s_lshl_b64 s[6:7], s[6:7], 3
	v_and_b32_e32 v7, 63, v0
	v_mov_b32_e32 v8, 0
	v_mov_b32_e32 v9, 0
	s_waitcnt lgkmcnt(0)
	s_ashr_i32 s1, s0, 31
	s_add_u32 s2, s12, s6
	s_addc_u32 s6, s13, s7
	s_lshl_b64 s[0:1], s[0:1], 3
	s_add_u32 s0, s2, s0
	s_addc_u32 s1, s6, s1
	s_load_dwordx2 s[18:19], s[0:1], 0x0
	s_load_dwordx2 s[0:1], s[4:5], 0x10
	s_mov_b32 s2, exec_lo
	s_waitcnt lgkmcnt(0)
	s_lshl_b64 s[16:17], s[18:19], 2
	s_add_u32 s0, s0, s16
	s_addc_u32 s1, s1, s17
	s_load_dwordx4 s[12:15], s[4:5], 0x38
	s_load_dwordx2 s[0:1], s[0:1], 0x0
	v_cmpx_eq_u32_e32 0, v7
	s_cbranch_execz .LBB42_7
; %bb.6:
	s_load_dwordx4 s[24:27], s[4:5], 0x28
	s_waitcnt lgkmcnt(0)
	s_mul_i32 s6, s18, s27
	s_mul_hi_u32 s7, s18, s26
	s_mul_i32 s21, s19, s26
	s_add_i32 s7, s7, s6
	s_mul_i32 s6, s18, s26
	s_add_i32 s7, s7, s21
	s_lshl_b64 s[6:7], s[6:7], 3
	s_add_u32 s6, s24, s6
	s_addc_u32 s7, s25, s7
	s_load_dwordx2 s[6:7], s[6:7], 0x0
	s_waitcnt lgkmcnt(0)
	v_mul_f32_e64 v8, s7, -s3
	v_mul_f32_e64 v9, s7, s20
	v_fmac_f32_e64 v8, s20, s6
	v_fmac_f32_e64 v9, s3, s6
.LBB42_7:
	s_or_b32 exec_lo, exec_lo, s2
	v_subrev_nc_u32_e32 v0, s8, v7
	s_waitcnt lgkmcnt(0)
	s_sub_i32 s23, s1, s8
	s_mov_b32 s22, exec_lo
	v_add_nc_u32_e32 v0, s0, v0
	v_cmpx_gt_i32_e64 s23, v0
	s_cbranch_execz .LBB42_47
; %bb.8:
	s_clause 0x1
	s_load_dwordx2 s[2:3], s[4:5], 0x58
	s_load_dwordx4 s[4:7], s[4:5], 0x18
	s_cmp_eq_u32 s10, 0
	v_mov_b32_e32 v10, 0
	s_cselect_b32 s25, -1, 0
	s_add_u32 s20, s18, s8
	s_mov_b32 s24, 0
	s_addc_u32 s21, s19, 0
	s_lshl_b32 s26, s11, 3
	s_branch .LBB42_10
.LBB42_9:                               ;   in Loop: Header=BB42_10 Depth=1
	s_or_b32 exec_lo, exec_lo, s27
	s_and_b32 s0, exec_lo, s0
	s_or_b32 s24, s0, s24
	s_andn2_b32 exec_lo, exec_lo, s24
	s_cbranch_execz .LBB42_46
.LBB42_10:                              ; =>This Loop Header: Depth=1
                                        ;     Child Loop BB42_35 Depth 2
                                        ;       Child Loop BB42_36 Depth 3
	v_ashrrev_i32_e32 v1, 31, v0
	v_lshlrev_b64 v[1:2], 3, v[0:1]
	s_waitcnt lgkmcnt(0)
	v_add_co_u32 v3, vcc_lo, s4, v1
	v_add_co_ci_u32_e64 v4, null, s5, v2, vcc_lo
	v_add_co_u32 v1, vcc_lo, s6, v1
	v_add_co_ci_u32_e64 v2, null, s7, v2, vcc_lo
	global_load_dwordx2 v[3:4], v[3:4], off slc
	global_load_dwordx2 v[1:2], v[1:2], off slc
	s_waitcnt vmcnt(1)
	v_sub_co_u32 v3, vcc_lo, v3, s8
	v_subrev_co_ci_u32_e64 v4, null, 0, v4, vcc_lo
	s_waitcnt vmcnt(0)
	v_cmp_eq_f32_e64 s0, 0, v1
	v_cmp_eq_f32_e64 s1, 0, v2
	v_cmp_eq_u64_e32 vcc_lo, s[18:19], v[3:4]
	s_and_b32 s1, s0, s1
	v_cmp_ne_u64_e64 s0, s[18:19], v[3:4]
	s_and_b32 s1, s1, vcc_lo
	s_and_b32 s1, s25, s1
	s_and_saveexec_b32 s27, s1
	s_cbranch_execz .LBB42_14
; %bb.11:                               ;   in Loop: Header=BB42_10 Depth=1
	v_mbcnt_lo_u32_b32 v1, exec_lo, 0
	s_mov_b32 s28, exec_lo
	v_cmpx_eq_u32_e32 0, v1
	s_cbranch_execz .LBB42_13
; %bb.12:                               ;   in Loop: Header=BB42_10 Depth=1
	v_mov_b32_e32 v1, s20
	v_mov_b32_e32 v2, s21
	global_atomic_umin_x2 v10, v[1:2], s[2:3]
.LBB42_13:                              ;   in Loop: Header=BB42_10 Depth=1
	s_or_b32 exec_lo, exec_lo, s28
	v_mov_b32_e32 v2, 0
	v_mov_b32_e32 v1, 1.0
.LBB42_14:                              ;   in Loop: Header=BB42_10 Depth=1
	s_or_b32 exec_lo, exec_lo, s27
	s_mov_b32 s1, -1
	s_mov_b32 s27, 0
	s_cmp_lt_i32 s9, 1
	s_mov_b32 s28, 0
	s_cbranch_scc1 .LBB42_24
; %bb.15:                               ;   in Loop: Header=BB42_10 Depth=1
	s_cmp_eq_u32 s9, 1
	s_mov_b32 s28, -1
	s_cbranch_scc0 .LBB42_23
; %bb.16:                               ;   in Loop: Header=BB42_10 Depth=1
	s_mov_b32 s28, 0
	s_mov_b32 s29, exec_lo
	v_cmpx_le_i64_e64 s[18:19], v[3:4]
	s_cbranch_execz .LBB42_22
; %bb.17:                               ;   in Loop: Header=BB42_10 Depth=1
	s_mov_b32 s28, -1
	s_and_saveexec_b32 s1, vcc_lo
	s_xor_b32 s1, exec_lo, s1
	s_cbranch_execz .LBB42_21
; %bb.18:                               ;   in Loop: Header=BB42_10 Depth=1
	s_andn2_b32 vcc_lo, exec_lo, s25
	s_cbranch_vccnz .LBB42_20
; %bb.19:                               ;   in Loop: Header=BB42_10 Depth=1
	v_mul_f32_e32 v5, v2, v2
	v_fmac_f32_e32 v5, v1, v1
	v_div_scale_f32 v6, null, v5, v5, 1.0
	v_div_scale_f32 v13, vcc_lo, 1.0, v5, 1.0
	v_rcp_f32_e32 v11, v6
	v_fma_f32 v12, -v6, v11, 1.0
	v_fmac_f32_e32 v11, v12, v11
	v_mul_f32_e32 v12, v13, v11
	v_fma_f32 v14, -v6, v12, v13
	v_fmac_f32_e32 v12, v14, v11
	v_fma_f32 v6, -v6, v12, v13
	v_div_fmas_f32 v6, v6, v11, v12
	v_fma_f32 v11, 0, v2, v1
	v_fma_f32 v12, v1, 0, -v2
	v_div_fixup_f32 v6, v6, v5, 1.0
	v_mul_f32_e32 v5, v11, v6
	v_mul_f32_e32 v6, v12, v6
	v_mov_b32_e32 v11, s26
	ds_write_b64 v11, v[5:6]
.LBB42_20:                              ;   in Loop: Header=BB42_10 Depth=1
	s_xor_b32 s28, exec_lo, -1
.LBB42_21:                              ;   in Loop: Header=BB42_10 Depth=1
	s_or_b32 exec_lo, exec_lo, s1
	s_and_b32 s28, s28, exec_lo
.LBB42_22:                              ;   in Loop: Header=BB42_10 Depth=1
	s_or_b32 exec_lo, exec_lo, s29
.LBB42_23:                              ;   in Loop: Header=BB42_10 Depth=1
	s_mov_b32 s1, 0
.LBB42_24:                              ;   in Loop: Header=BB42_10 Depth=1
	s_and_b32 vcc_lo, exec_lo, s1
	s_mov_b32 s1, 4
	s_cbranch_vccz .LBB42_31
; %bb.25:                               ;   in Loop: Header=BB42_10 Depth=1
	s_cmp_eq_u32 s9, 0
	s_cbranch_scc1 .LBB42_27
; %bb.26:                               ;   in Loop: Header=BB42_10 Depth=1
	s_mov_b32 s28, -1
	s_branch .LBB42_30
.LBB42_27:                              ;   in Loop: Header=BB42_10 Depth=1
	s_mov_b32 s28, 0
	s_mov_b32 s1, exec_lo
	v_cmpx_ge_i64_e64 s[18:19], v[3:4]
; %bb.28:                               ;   in Loop: Header=BB42_10 Depth=1
	s_mov_b32 s27, exec_lo
	s_and_b32 s28, s0, exec_lo
; %bb.29:                               ;   in Loop: Header=BB42_10 Depth=1
	s_or_b32 exec_lo, exec_lo, s1
.LBB42_30:                              ;   in Loop: Header=BB42_10 Depth=1
	s_mov_b32 s1, 2
.LBB42_31:                              ;   in Loop: Header=BB42_10 Depth=1
	v_mov_b32_e32 v5, s1
	v_mov_b32_e32 v11, v9
	;; [unrolled: 1-line block ×3, first 2 shown]
	s_and_saveexec_b32 s0, s28
	s_cbranch_execz .LBB42_38
; %bb.32:                               ;   in Loop: Header=BB42_10 Depth=1
	v_lshlrev_b64 v[5:6], 2, v[3:4]
	s_mov_b32 s1, exec_lo
	v_add_co_u32 v5, vcc_lo, s14, v5
	v_add_co_ci_u32_e64 v6, null, s15, v6, vcc_lo
	global_load_dword v11, v[5:6], off glc dlc
	s_waitcnt vmcnt(0)
	v_cmpx_eq_u32_e32 0, v11
	s_cbranch_execz .LBB42_37
; %bb.33:                               ;   in Loop: Header=BB42_10 Depth=1
	s_mov_b32 s28, 0
	s_mov_b32 s29, 0
	s_branch .LBB42_35
	.p2align	6
.LBB42_34:                              ;   in Loop: Header=BB42_35 Depth=2
	global_load_dword v11, v[5:6], off glc dlc
	s_cmpk_lt_u32 s29, 0xf43
	s_cselect_b32 s30, -1, 0
	s_cmp_lg_u32 s30, 0
	s_addc_u32 s29, s29, 0
	s_waitcnt vmcnt(0)
	v_cmp_ne_u32_e32 vcc_lo, 0, v11
	s_or_b32 s28, vcc_lo, s28
	s_andn2_b32 exec_lo, exec_lo, s28
	s_cbranch_execz .LBB42_37
.LBB42_35:                              ;   Parent Loop BB42_10 Depth=1
                                        ; =>  This Loop Header: Depth=2
                                        ;       Child Loop BB42_36 Depth 3
	s_cmp_eq_u32 s29, 0
	s_mov_b32 s30, s29
	s_cbranch_scc1 .LBB42_34
.LBB42_36:                              ;   Parent Loop BB42_10 Depth=1
                                        ;     Parent Loop BB42_35 Depth=2
                                        ; =>    This Inner Loop Header: Depth=3
	s_add_i32 s30, s30, -1
	s_sleep 1
	s_cmp_eq_u32 s30, 0
	s_cbranch_scc0 .LBB42_36
	s_branch .LBB42_34
.LBB42_37:                              ;   in Loop: Header=BB42_10 Depth=1
	s_or_b32 exec_lo, exec_lo, s1
	v_lshlrev_b64 v[3:4], 3, v[3:4]
	s_waitcnt lgkmcnt(0)
	s_waitcnt_vscnt null, 0x0
	buffer_gl1_inv
	buffer_gl0_inv
	v_mov_b32_e32 v5, 0
	s_andn2_b32 s27, s27, exec_lo
	v_add_co_u32 v3, vcc_lo, s12, v3
	v_add_co_ci_u32_e64 v4, null, s13, v4, vcc_lo
	global_load_dwordx2 v[3:4], v[3:4], off
	s_waitcnt vmcnt(0)
	v_fma_f32 v6, -v1, v3, v8
	v_fma_f32 v3, -v2, v3, v9
	v_fmac_f32_e32 v6, v2, v4
	v_fma_f32 v11, -v1, v4, v3
.LBB42_38:                              ;   in Loop: Header=BB42_10 Depth=1
	s_or_b32 exec_lo, exec_lo, s0
	s_and_saveexec_b32 s0, s27
	s_cbranch_execz .LBB42_42
; %bb.39:                               ;   in Loop: Header=BB42_10 Depth=1
	s_andn2_b32 vcc_lo, exec_lo, s25
	s_cbranch_vccnz .LBB42_41
; %bb.40:                               ;   in Loop: Header=BB42_10 Depth=1
	v_mul_f32_e32 v3, v2, v2
	v_fmac_f32_e32 v3, v1, v1
	v_div_scale_f32 v4, null, v3, v3, 1.0
	v_div_scale_f32 v11, vcc_lo, 1.0, v3, 1.0
	v_rcp_f32_e32 v5, v4
	v_fma_f32 v6, -v4, v5, 1.0
	v_fmac_f32_e32 v5, v6, v5
	v_mul_f32_e32 v6, v11, v5
	v_fma_f32 v12, -v4, v6, v11
	v_fmac_f32_e32 v6, v12, v5
	v_fma_f32 v4, -v4, v6, v11
	v_div_fmas_f32 v4, v4, v5, v6
	v_fma_f32 v5, 0, v2, v1
	v_fma_f32 v2, v1, 0, -v2
	v_div_fixup_f32 v3, v4, v3, 1.0
	v_mul_f32_e32 v1, v5, v3
	v_mul_f32_e32 v2, v2, v3
	v_mov_b32_e32 v3, s26
	ds_write_b64 v3, v[1:2]
.LBB42_41:                              ;   in Loop: Header=BB42_10 Depth=1
	v_mov_b32_e32 v5, 2
	v_mov_b32_e32 v6, v8
	v_mov_b32_e32 v11, v9
.LBB42_42:                              ;   in Loop: Header=BB42_10 Depth=1
	s_or_b32 exec_lo, exec_lo, s0
	v_mov_b32_e32 v9, v11
	v_mov_b32_e32 v8, v6
	s_mov_b32 s0, -1
	s_mov_b32 s1, -1
	s_mov_b32 s27, exec_lo
	v_cmpx_gt_i32_e32 4, v5
; %bb.43:                               ;   in Loop: Header=BB42_10 Depth=1
	v_cmp_eq_u32_e32 vcc_lo, 0, v5
	s_orn2_b32 s1, vcc_lo, exec_lo
; %bb.44:                               ;   in Loop: Header=BB42_10 Depth=1
	s_or_b32 exec_lo, exec_lo, s27
	s_and_saveexec_b32 s27, s1
	s_cbranch_execz .LBB42_9
; %bb.45:                               ;   in Loop: Header=BB42_10 Depth=1
	v_add_nc_u32_e32 v0, 64, v0
	v_cmp_le_i32_e32 vcc_lo, s23, v0
	s_orn2_b32 s0, vcc_lo, exec_lo
	s_branch .LBB42_9
.LBB42_46:
	s_or_b32 exec_lo, exec_lo, s24
.LBB42_47:
	s_or_b32 exec_lo, exec_lo, s22
	v_mbcnt_lo_u32_b32 v0, -1, 0
	s_cmp_lg_u32 s10, 0
	v_or_b32_e32 v1, 32, v0
	v_xor_b32_e32 v3, 16, v0
	v_xor_b32_e32 v5, 8, v0
	v_cmp_gt_i32_e32 vcc_lo, 32, v1
	v_cndmask_b32_e32 v1, v0, v1, vcc_lo
	v_cmp_gt_i32_e32 vcc_lo, 32, v3
	v_lshlrev_b32_e32 v1, 2, v1
	v_cndmask_b32_e32 v3, v0, v3, vcc_lo
	v_cmp_gt_i32_e32 vcc_lo, 32, v5
	ds_bpermute_b32 v2, v1, v8
	ds_bpermute_b32 v1, v1, v9
	v_lshlrev_b32_e32 v3, 2, v3
	v_cndmask_b32_e32 v5, v0, v5, vcc_lo
	v_lshlrev_b32_e32 v5, 2, v5
	s_waitcnt lgkmcnt(1)
	v_add_f32_e32 v2, v8, v2
	s_waitcnt lgkmcnt(0)
	v_add_f32_e32 v1, v9, v1
	ds_bpermute_b32 v4, v3, v2
	ds_bpermute_b32 v3, v3, v1
	s_waitcnt lgkmcnt(1)
	v_add_f32_e32 v2, v2, v4
	s_waitcnt lgkmcnt(0)
	v_add_f32_e32 v1, v1, v3
	ds_bpermute_b32 v3, v5, v2
	ds_bpermute_b32 v4, v5, v1
	v_xor_b32_e32 v5, 4, v0
	v_cmp_gt_i32_e32 vcc_lo, 32, v5
	v_cndmask_b32_e32 v5, v0, v5, vcc_lo
	v_lshlrev_b32_e32 v5, 2, v5
	s_waitcnt lgkmcnt(1)
	v_add_f32_e32 v2, v2, v3
	s_waitcnt lgkmcnt(0)
	v_add_f32_e32 v1, v1, v4
	ds_bpermute_b32 v3, v5, v2
	ds_bpermute_b32 v4, v5, v1
	v_xor_b32_e32 v5, 2, v0
	v_cmp_gt_i32_e32 vcc_lo, 32, v5
	v_cndmask_b32_e32 v5, v0, v5, vcc_lo
	v_lshlrev_b32_e32 v5, 2, v5
	;; [unrolled: 10-line block ×3, first 2 shown]
	s_waitcnt lgkmcnt(1)
	v_add_f32_e32 v2, v2, v3
	s_waitcnt lgkmcnt(0)
	v_add_f32_e32 v1, v1, v4
	ds_bpermute_b32 v3, v0, v2
	ds_bpermute_b32 v4, v0, v1
	s_waitcnt lgkmcnt(1)
	v_add_f32_e32 v0, v2, v3
	s_waitcnt lgkmcnt(0)
	v_add_f32_e32 v1, v1, v4
	s_cbranch_scc1 .LBB42_49
; %bb.48:
	s_lshl_b32 s0, s11, 3
	s_waitcnt_vscnt null, 0x0
	buffer_gl0_inv
	v_mov_b32_e32 v2, s0
	ds_read_b64 v[2:3], v2
	s_waitcnt lgkmcnt(0)
	v_mul_f32_e64 v4, v3, -v1
	v_mul_f32_e32 v3, v0, v3
	v_fmac_f32_e32 v4, v0, v2
	v_fmac_f32_e32 v3, v1, v2
	v_mov_b32_e32 v0, v4
	v_mov_b32_e32 v1, v3
.LBB42_49:
	s_mov_b32 s0, exec_lo
	v_cmpx_eq_u32_e32 63, v7
	s_cbranch_execz .LBB42_51
; %bb.50:
	s_lshl_b64 s[0:1], s[18:19], 3
	v_mov_b32_e32 v2, 0
	s_add_u32 s0, s12, s0
	v_mov_b32_e32 v3, 1
	s_addc_u32 s1, s13, s1
	s_add_u32 s2, s14, s16
	s_addc_u32 s3, s15, s17
	global_store_dwordx2 v2, v[0:1], s[0:1] glc slc
	s_waitcnt_vscnt null, 0x0
	global_store_dword v2, v3, s[2:3]
.LBB42_51:
	s_endpgm
	.section	.rodata,"a",@progbits
	.p2align	6, 0x0
	.amdhsa_kernel _ZN9rocsparseL12csrsv_kernelILj1024ELj64ELb1Eil21rocsparse_complex_numIfEEEvT3_NS_24const_host_device_scalarIT4_EEPKT2_PKS3_PKS5_SD_lPS5_PiSB_iPS3_21rocsparse_index_base_20rocsparse_fill_mode_20rocsparse_diag_type_b
		.amdhsa_group_segment_fixed_size 128
		.amdhsa_private_segment_fixed_size 0
		.amdhsa_kernarg_size 112
		.amdhsa_user_sgpr_count 6
		.amdhsa_user_sgpr_private_segment_buffer 1
		.amdhsa_user_sgpr_dispatch_ptr 0
		.amdhsa_user_sgpr_queue_ptr 0
		.amdhsa_user_sgpr_kernarg_segment_ptr 1
		.amdhsa_user_sgpr_dispatch_id 0
		.amdhsa_user_sgpr_flat_scratch_init 0
		.amdhsa_user_sgpr_private_segment_size 0
		.amdhsa_wavefront_size32 1
		.amdhsa_uses_dynamic_stack 0
		.amdhsa_system_sgpr_private_segment_wavefront_offset 0
		.amdhsa_system_sgpr_workgroup_id_x 1
		.amdhsa_system_sgpr_workgroup_id_y 0
		.amdhsa_system_sgpr_workgroup_id_z 0
		.amdhsa_system_sgpr_workgroup_info 0
		.amdhsa_system_vgpr_workitem_id 0
		.amdhsa_next_free_vgpr 15
		.amdhsa_next_free_sgpr 31
		.amdhsa_reserve_vcc 1
		.amdhsa_reserve_flat_scratch 0
		.amdhsa_float_round_mode_32 0
		.amdhsa_float_round_mode_16_64 0
		.amdhsa_float_denorm_mode_32 3
		.amdhsa_float_denorm_mode_16_64 3
		.amdhsa_dx10_clamp 1
		.amdhsa_ieee_mode 1
		.amdhsa_fp16_overflow 0
		.amdhsa_workgroup_processor_mode 1
		.amdhsa_memory_ordered 1
		.amdhsa_forward_progress 1
		.amdhsa_shared_vgpr_count 0
		.amdhsa_exception_fp_ieee_invalid_op 0
		.amdhsa_exception_fp_denorm_src 0
		.amdhsa_exception_fp_ieee_div_zero 0
		.amdhsa_exception_fp_ieee_overflow 0
		.amdhsa_exception_fp_ieee_underflow 0
		.amdhsa_exception_fp_ieee_inexact 0
		.amdhsa_exception_int_div_zero 0
	.end_amdhsa_kernel
	.section	.text._ZN9rocsparseL12csrsv_kernelILj1024ELj64ELb1Eil21rocsparse_complex_numIfEEEvT3_NS_24const_host_device_scalarIT4_EEPKT2_PKS3_PKS5_SD_lPS5_PiSB_iPS3_21rocsparse_index_base_20rocsparse_fill_mode_20rocsparse_diag_type_b,"axG",@progbits,_ZN9rocsparseL12csrsv_kernelILj1024ELj64ELb1Eil21rocsparse_complex_numIfEEEvT3_NS_24const_host_device_scalarIT4_EEPKT2_PKS3_PKS5_SD_lPS5_PiSB_iPS3_21rocsparse_index_base_20rocsparse_fill_mode_20rocsparse_diag_type_b,comdat
.Lfunc_end42:
	.size	_ZN9rocsparseL12csrsv_kernelILj1024ELj64ELb1Eil21rocsparse_complex_numIfEEEvT3_NS_24const_host_device_scalarIT4_EEPKT2_PKS3_PKS5_SD_lPS5_PiSB_iPS3_21rocsparse_index_base_20rocsparse_fill_mode_20rocsparse_diag_type_b, .Lfunc_end42-_ZN9rocsparseL12csrsv_kernelILj1024ELj64ELb1Eil21rocsparse_complex_numIfEEEvT3_NS_24const_host_device_scalarIT4_EEPKT2_PKS3_PKS5_SD_lPS5_PiSB_iPS3_21rocsparse_index_base_20rocsparse_fill_mode_20rocsparse_diag_type_b
                                        ; -- End function
	.set _ZN9rocsparseL12csrsv_kernelILj1024ELj64ELb1Eil21rocsparse_complex_numIfEEEvT3_NS_24const_host_device_scalarIT4_EEPKT2_PKS3_PKS5_SD_lPS5_PiSB_iPS3_21rocsparse_index_base_20rocsparse_fill_mode_20rocsparse_diag_type_b.num_vgpr, 15
	.set _ZN9rocsparseL12csrsv_kernelILj1024ELj64ELb1Eil21rocsparse_complex_numIfEEEvT3_NS_24const_host_device_scalarIT4_EEPKT2_PKS3_PKS5_SD_lPS5_PiSB_iPS3_21rocsparse_index_base_20rocsparse_fill_mode_20rocsparse_diag_type_b.num_agpr, 0
	.set _ZN9rocsparseL12csrsv_kernelILj1024ELj64ELb1Eil21rocsparse_complex_numIfEEEvT3_NS_24const_host_device_scalarIT4_EEPKT2_PKS3_PKS5_SD_lPS5_PiSB_iPS3_21rocsparse_index_base_20rocsparse_fill_mode_20rocsparse_diag_type_b.numbered_sgpr, 31
	.set _ZN9rocsparseL12csrsv_kernelILj1024ELj64ELb1Eil21rocsparse_complex_numIfEEEvT3_NS_24const_host_device_scalarIT4_EEPKT2_PKS3_PKS5_SD_lPS5_PiSB_iPS3_21rocsparse_index_base_20rocsparse_fill_mode_20rocsparse_diag_type_b.num_named_barrier, 0
	.set _ZN9rocsparseL12csrsv_kernelILj1024ELj64ELb1Eil21rocsparse_complex_numIfEEEvT3_NS_24const_host_device_scalarIT4_EEPKT2_PKS3_PKS5_SD_lPS5_PiSB_iPS3_21rocsparse_index_base_20rocsparse_fill_mode_20rocsparse_diag_type_b.private_seg_size, 0
	.set _ZN9rocsparseL12csrsv_kernelILj1024ELj64ELb1Eil21rocsparse_complex_numIfEEEvT3_NS_24const_host_device_scalarIT4_EEPKT2_PKS3_PKS5_SD_lPS5_PiSB_iPS3_21rocsparse_index_base_20rocsparse_fill_mode_20rocsparse_diag_type_b.uses_vcc, 1
	.set _ZN9rocsparseL12csrsv_kernelILj1024ELj64ELb1Eil21rocsparse_complex_numIfEEEvT3_NS_24const_host_device_scalarIT4_EEPKT2_PKS3_PKS5_SD_lPS5_PiSB_iPS3_21rocsparse_index_base_20rocsparse_fill_mode_20rocsparse_diag_type_b.uses_flat_scratch, 0
	.set _ZN9rocsparseL12csrsv_kernelILj1024ELj64ELb1Eil21rocsparse_complex_numIfEEEvT3_NS_24const_host_device_scalarIT4_EEPKT2_PKS3_PKS5_SD_lPS5_PiSB_iPS3_21rocsparse_index_base_20rocsparse_fill_mode_20rocsparse_diag_type_b.has_dyn_sized_stack, 0
	.set _ZN9rocsparseL12csrsv_kernelILj1024ELj64ELb1Eil21rocsparse_complex_numIfEEEvT3_NS_24const_host_device_scalarIT4_EEPKT2_PKS3_PKS5_SD_lPS5_PiSB_iPS3_21rocsparse_index_base_20rocsparse_fill_mode_20rocsparse_diag_type_b.has_recursion, 0
	.set _ZN9rocsparseL12csrsv_kernelILj1024ELj64ELb1Eil21rocsparse_complex_numIfEEEvT3_NS_24const_host_device_scalarIT4_EEPKT2_PKS3_PKS5_SD_lPS5_PiSB_iPS3_21rocsparse_index_base_20rocsparse_fill_mode_20rocsparse_diag_type_b.has_indirect_call, 0
	.section	.AMDGPU.csdata,"",@progbits
; Kernel info:
; codeLenInByte = 1848
; TotalNumSgprs: 33
; NumVgprs: 15
; ScratchSize: 0
; MemoryBound: 0
; FloatMode: 240
; IeeeMode: 1
; LDSByteSize: 128 bytes/workgroup (compile time only)
; SGPRBlocks: 0
; VGPRBlocks: 1
; NumSGPRsForWavesPerEU: 33
; NumVGPRsForWavesPerEU: 15
; Occupancy: 16
; WaveLimiterHint : 1
; COMPUTE_PGM_RSRC2:SCRATCH_EN: 0
; COMPUTE_PGM_RSRC2:USER_SGPR: 6
; COMPUTE_PGM_RSRC2:TRAP_HANDLER: 0
; COMPUTE_PGM_RSRC2:TGID_X_EN: 1
; COMPUTE_PGM_RSRC2:TGID_Y_EN: 0
; COMPUTE_PGM_RSRC2:TGID_Z_EN: 0
; COMPUTE_PGM_RSRC2:TIDIG_COMP_CNT: 0
	.section	.text._ZN9rocsparseL12csrsv_kernelILj1024ELj32ELb0Eil21rocsparse_complex_numIfEEEvT3_NS_24const_host_device_scalarIT4_EEPKT2_PKS3_PKS5_SD_lPS5_PiSB_iPS3_21rocsparse_index_base_20rocsparse_fill_mode_20rocsparse_diag_type_b,"axG",@progbits,_ZN9rocsparseL12csrsv_kernelILj1024ELj32ELb0Eil21rocsparse_complex_numIfEEEvT3_NS_24const_host_device_scalarIT4_EEPKT2_PKS3_PKS5_SD_lPS5_PiSB_iPS3_21rocsparse_index_base_20rocsparse_fill_mode_20rocsparse_diag_type_b,comdat
	.globl	_ZN9rocsparseL12csrsv_kernelILj1024ELj32ELb0Eil21rocsparse_complex_numIfEEEvT3_NS_24const_host_device_scalarIT4_EEPKT2_PKS3_PKS5_SD_lPS5_PiSB_iPS3_21rocsparse_index_base_20rocsparse_fill_mode_20rocsparse_diag_type_b ; -- Begin function _ZN9rocsparseL12csrsv_kernelILj1024ELj32ELb0Eil21rocsparse_complex_numIfEEEvT3_NS_24const_host_device_scalarIT4_EEPKT2_PKS3_PKS5_SD_lPS5_PiSB_iPS3_21rocsparse_index_base_20rocsparse_fill_mode_20rocsparse_diag_type_b
	.p2align	8
	.type	_ZN9rocsparseL12csrsv_kernelILj1024ELj32ELb0Eil21rocsparse_complex_numIfEEEvT3_NS_24const_host_device_scalarIT4_EEPKT2_PKS3_PKS5_SD_lPS5_PiSB_iPS3_21rocsparse_index_base_20rocsparse_fill_mode_20rocsparse_diag_type_b,@function
_ZN9rocsparseL12csrsv_kernelILj1024ELj32ELb0Eil21rocsparse_complex_numIfEEEvT3_NS_24const_host_device_scalarIT4_EEPKT2_PKS3_PKS5_SD_lPS5_PiSB_iPS3_21rocsparse_index_base_20rocsparse_fill_mode_20rocsparse_diag_type_b: ; @_ZN9rocsparseL12csrsv_kernelILj1024ELj32ELb0Eil21rocsparse_complex_numIfEEEvT3_NS_24const_host_device_scalarIT4_EEPKT2_PKS3_PKS5_SD_lPS5_PiSB_iPS3_21rocsparse_index_base_20rocsparse_fill_mode_20rocsparse_diag_type_b
; %bb.0:
	s_clause 0x1
	s_load_dwordx4 s[8:11], s[4:5], 0x60
	s_load_dwordx4 s[0:3], s[4:5], 0x0
	s_waitcnt lgkmcnt(0)
	s_bitcmp1_b32 s11, 0
	s_mov_b32 s20, s2
	s_cselect_b32 s11, -1, 0
	s_xor_b32 s7, s11, -1
	s_and_b32 vcc_lo, exec_lo, s11
	s_cbranch_vccnz .LBB43_2
; %bb.1:
	s_load_dword s20, s[2:3], 0x0
.LBB43_2:
	s_andn2_b32 vcc_lo, exec_lo, s7
	s_cbranch_vccnz .LBB43_4
; %bb.3:
	s_load_dword s3, s[2:3], 0x4
.LBB43_4:
	v_readfirstlane_b32 s2, v0
	s_lshl_b32 s6, s6, 5
	s_mov_b32 s7, 0
	s_lshr_b32 s11, s2, 5
	s_add_i32 s6, s11, s6
	v_cmp_le_i64_e64 s0, s[0:1], s[6:7]
	s_and_b32 vcc_lo, exec_lo, s0
	s_cbranch_vccnz .LBB43_49
; %bb.5:
	s_clause 0x1
	s_load_dword s0, s[4:5], 0x50
	s_load_dwordx2 s[12:13], s[4:5], 0x48
	s_lshl_b64 s[6:7], s[6:7], 3
	v_and_b32_e32 v7, 31, v0
	v_mov_b32_e32 v8, 0
	v_mov_b32_e32 v9, 0
	s_waitcnt lgkmcnt(0)
	s_ashr_i32 s1, s0, 31
	s_add_u32 s2, s12, s6
	s_addc_u32 s6, s13, s7
	s_lshl_b64 s[0:1], s[0:1], 3
	s_add_u32 s0, s2, s0
	s_addc_u32 s1, s6, s1
	s_load_dwordx2 s[18:19], s[0:1], 0x0
	s_load_dwordx2 s[0:1], s[4:5], 0x10
	s_mov_b32 s2, exec_lo
	s_waitcnt lgkmcnt(0)
	s_lshl_b64 s[16:17], s[18:19], 2
	s_add_u32 s0, s0, s16
	s_addc_u32 s1, s1, s17
	s_load_dwordx4 s[12:15], s[4:5], 0x38
	s_load_dwordx2 s[0:1], s[0:1], 0x0
	v_cmpx_eq_u32_e32 0, v7
	s_cbranch_execz .LBB43_7
; %bb.6:
	s_load_dwordx4 s[24:27], s[4:5], 0x28
	s_waitcnt lgkmcnt(0)
	s_mul_i32 s6, s18, s27
	s_mul_hi_u32 s7, s18, s26
	s_mul_i32 s21, s19, s26
	s_add_i32 s7, s7, s6
	s_mul_i32 s6, s18, s26
	s_add_i32 s7, s7, s21
	s_lshl_b64 s[6:7], s[6:7], 3
	s_add_u32 s6, s24, s6
	s_addc_u32 s7, s25, s7
	s_load_dwordx2 s[6:7], s[6:7], 0x0
	s_waitcnt lgkmcnt(0)
	v_mul_f32_e64 v8, s7, -s3
	v_mul_f32_e64 v9, s7, s20
	v_fmac_f32_e64 v8, s20, s6
	v_fmac_f32_e64 v9, s3, s6
.LBB43_7:
	s_or_b32 exec_lo, exec_lo, s2
	v_subrev_nc_u32_e32 v0, s8, v7
	s_waitcnt lgkmcnt(0)
	s_sub_i32 s23, s1, s8
	s_mov_b32 s22, exec_lo
	v_add_nc_u32_e32 v0, s0, v0
	v_cmpx_gt_i32_e64 s23, v0
	s_cbranch_execz .LBB43_45
; %bb.8:
	s_clause 0x1
	s_load_dwordx2 s[2:3], s[4:5], 0x58
	s_load_dwordx4 s[4:7], s[4:5], 0x18
	s_cmp_eq_u32 s10, 0
	v_mov_b32_e32 v10, 0
	s_cselect_b32 s25, -1, 0
	s_add_u32 s20, s18, s8
	s_mov_b32 s24, 0
	s_addc_u32 s21, s19, 0
	s_lshl_b32 s26, s11, 3
	s_branch .LBB43_10
.LBB43_9:                               ;   in Loop: Header=BB43_10 Depth=1
	s_or_b32 exec_lo, exec_lo, s27
	s_and_b32 s0, exec_lo, s0
	s_or_b32 s24, s0, s24
	s_andn2_b32 exec_lo, exec_lo, s24
	s_cbranch_execz .LBB43_44
.LBB43_10:                              ; =>This Loop Header: Depth=1
                                        ;     Child Loop BB43_34 Depth 2
	v_ashrrev_i32_e32 v1, 31, v0
	v_lshlrev_b64 v[1:2], 3, v[0:1]
	s_waitcnt lgkmcnt(0)
	v_add_co_u32 v3, vcc_lo, s4, v1
	v_add_co_ci_u32_e64 v4, null, s5, v2, vcc_lo
	v_add_co_u32 v1, vcc_lo, s6, v1
	v_add_co_ci_u32_e64 v2, null, s7, v2, vcc_lo
	global_load_dwordx2 v[3:4], v[3:4], off slc
	global_load_dwordx2 v[1:2], v[1:2], off slc
	s_waitcnt vmcnt(1)
	v_sub_co_u32 v3, vcc_lo, v3, s8
	v_subrev_co_ci_u32_e64 v4, null, 0, v4, vcc_lo
	s_waitcnt vmcnt(0)
	v_cmp_eq_f32_e64 s0, 0, v1
	v_cmp_eq_f32_e64 s1, 0, v2
	v_cmp_eq_u64_e32 vcc_lo, s[18:19], v[3:4]
	s_and_b32 s1, s0, s1
	v_cmp_ne_u64_e64 s0, s[18:19], v[3:4]
	s_and_b32 s1, s1, vcc_lo
	s_and_b32 s1, s25, s1
	s_and_saveexec_b32 s27, s1
	s_cbranch_execz .LBB43_14
; %bb.11:                               ;   in Loop: Header=BB43_10 Depth=1
	v_mbcnt_lo_u32_b32 v1, exec_lo, 0
	s_mov_b32 s28, exec_lo
	v_cmpx_eq_u32_e32 0, v1
	s_cbranch_execz .LBB43_13
; %bb.12:                               ;   in Loop: Header=BB43_10 Depth=1
	v_mov_b32_e32 v1, s20
	v_mov_b32_e32 v2, s21
	global_atomic_umin_x2 v10, v[1:2], s[2:3]
.LBB43_13:                              ;   in Loop: Header=BB43_10 Depth=1
	s_or_b32 exec_lo, exec_lo, s28
	v_mov_b32_e32 v2, 0
	v_mov_b32_e32 v1, 1.0
.LBB43_14:                              ;   in Loop: Header=BB43_10 Depth=1
	s_or_b32 exec_lo, exec_lo, s27
	s_mov_b32 s1, -1
	s_mov_b32 s27, 0
	s_cmp_lt_i32 s9, 1
	s_mov_b32 s28, 0
	s_cbranch_scc1 .LBB43_24
; %bb.15:                               ;   in Loop: Header=BB43_10 Depth=1
	s_cmp_eq_u32 s9, 1
	s_mov_b32 s28, -1
	s_cbranch_scc0 .LBB43_23
; %bb.16:                               ;   in Loop: Header=BB43_10 Depth=1
	s_mov_b32 s28, 0
	s_mov_b32 s29, exec_lo
	v_cmpx_le_i64_e64 s[18:19], v[3:4]
	s_cbranch_execz .LBB43_22
; %bb.17:                               ;   in Loop: Header=BB43_10 Depth=1
	s_mov_b32 s28, -1
	s_and_saveexec_b32 s1, vcc_lo
	s_xor_b32 s1, exec_lo, s1
	s_cbranch_execz .LBB43_21
; %bb.18:                               ;   in Loop: Header=BB43_10 Depth=1
	s_andn2_b32 vcc_lo, exec_lo, s25
	s_cbranch_vccnz .LBB43_20
; %bb.19:                               ;   in Loop: Header=BB43_10 Depth=1
	v_mul_f32_e32 v5, v2, v2
	v_fmac_f32_e32 v5, v1, v1
	v_div_scale_f32 v6, null, v5, v5, 1.0
	v_div_scale_f32 v13, vcc_lo, 1.0, v5, 1.0
	v_rcp_f32_e32 v11, v6
	v_fma_f32 v12, -v6, v11, 1.0
	v_fmac_f32_e32 v11, v12, v11
	v_mul_f32_e32 v12, v13, v11
	v_fma_f32 v14, -v6, v12, v13
	v_fmac_f32_e32 v12, v14, v11
	v_fma_f32 v6, -v6, v12, v13
	v_div_fmas_f32 v6, v6, v11, v12
	v_fma_f32 v11, 0, v2, v1
	v_fma_f32 v12, v1, 0, -v2
	v_div_fixup_f32 v6, v6, v5, 1.0
	v_mul_f32_e32 v5, v11, v6
	v_mul_f32_e32 v6, v12, v6
	v_mov_b32_e32 v11, s26
	ds_write_b64 v11, v[5:6]
.LBB43_20:                              ;   in Loop: Header=BB43_10 Depth=1
	s_xor_b32 s28, exec_lo, -1
.LBB43_21:                              ;   in Loop: Header=BB43_10 Depth=1
	s_or_b32 exec_lo, exec_lo, s1
	s_and_b32 s28, s28, exec_lo
.LBB43_22:                              ;   in Loop: Header=BB43_10 Depth=1
	s_or_b32 exec_lo, exec_lo, s29
.LBB43_23:                              ;   in Loop: Header=BB43_10 Depth=1
	s_mov_b32 s1, 0
.LBB43_24:                              ;   in Loop: Header=BB43_10 Depth=1
	s_and_b32 vcc_lo, exec_lo, s1
	s_mov_b32 s1, 4
	s_cbranch_vccz .LBB43_31
; %bb.25:                               ;   in Loop: Header=BB43_10 Depth=1
	s_cmp_eq_u32 s9, 0
	s_cbranch_scc1 .LBB43_27
; %bb.26:                               ;   in Loop: Header=BB43_10 Depth=1
	s_mov_b32 s28, -1
	s_branch .LBB43_30
.LBB43_27:                              ;   in Loop: Header=BB43_10 Depth=1
	s_mov_b32 s28, 0
	s_mov_b32 s1, exec_lo
	v_cmpx_ge_i64_e64 s[18:19], v[3:4]
; %bb.28:                               ;   in Loop: Header=BB43_10 Depth=1
	s_mov_b32 s27, exec_lo
	s_and_b32 s28, s0, exec_lo
; %bb.29:                               ;   in Loop: Header=BB43_10 Depth=1
	s_or_b32 exec_lo, exec_lo, s1
.LBB43_30:                              ;   in Loop: Header=BB43_10 Depth=1
	s_mov_b32 s1, 2
.LBB43_31:                              ;   in Loop: Header=BB43_10 Depth=1
	v_mov_b32_e32 v5, s1
	v_mov_b32_e32 v11, v9
	v_mov_b32_e32 v6, v8
	s_and_saveexec_b32 s0, s28
	s_cbranch_execz .LBB43_36
; %bb.32:                               ;   in Loop: Header=BB43_10 Depth=1
	v_lshlrev_b64 v[5:6], 2, v[3:4]
	s_mov_b32 s1, exec_lo
	v_add_co_u32 v5, vcc_lo, s14, v5
	v_add_co_ci_u32_e64 v6, null, s15, v6, vcc_lo
	global_load_dword v11, v[5:6], off glc dlc
	s_waitcnt vmcnt(0)
	v_cmpx_eq_u32_e32 0, v11
	s_cbranch_execz .LBB43_35
; %bb.33:                               ;   in Loop: Header=BB43_10 Depth=1
	s_mov_b32 s28, 0
.LBB43_34:                              ;   Parent Loop BB43_10 Depth=1
                                        ; =>  This Inner Loop Header: Depth=2
	global_load_dword v11, v[5:6], off glc dlc
	s_waitcnt vmcnt(0)
	v_cmp_ne_u32_e32 vcc_lo, 0, v11
	s_or_b32 s28, vcc_lo, s28
	s_andn2_b32 exec_lo, exec_lo, s28
	s_cbranch_execnz .LBB43_34
.LBB43_35:                              ;   in Loop: Header=BB43_10 Depth=1
	s_or_b32 exec_lo, exec_lo, s1
	v_lshlrev_b64 v[3:4], 3, v[3:4]
	s_waitcnt lgkmcnt(0)
	s_waitcnt_vscnt null, 0x0
	buffer_gl1_inv
	buffer_gl0_inv
	v_mov_b32_e32 v5, 0
	s_andn2_b32 s27, s27, exec_lo
	v_add_co_u32 v3, vcc_lo, s12, v3
	v_add_co_ci_u32_e64 v4, null, s13, v4, vcc_lo
	global_load_dwordx2 v[3:4], v[3:4], off
	s_waitcnt vmcnt(0)
	v_fma_f32 v6, -v1, v3, v8
	v_fma_f32 v3, -v2, v3, v9
	v_fmac_f32_e32 v6, v2, v4
	v_fma_f32 v11, -v1, v4, v3
.LBB43_36:                              ;   in Loop: Header=BB43_10 Depth=1
	s_or_b32 exec_lo, exec_lo, s0
	s_and_saveexec_b32 s0, s27
	s_cbranch_execz .LBB43_40
; %bb.37:                               ;   in Loop: Header=BB43_10 Depth=1
	s_andn2_b32 vcc_lo, exec_lo, s25
	s_cbranch_vccnz .LBB43_39
; %bb.38:                               ;   in Loop: Header=BB43_10 Depth=1
	v_mul_f32_e32 v3, v2, v2
	v_fmac_f32_e32 v3, v1, v1
	v_div_scale_f32 v4, null, v3, v3, 1.0
	v_div_scale_f32 v11, vcc_lo, 1.0, v3, 1.0
	v_rcp_f32_e32 v5, v4
	v_fma_f32 v6, -v4, v5, 1.0
	v_fmac_f32_e32 v5, v6, v5
	v_mul_f32_e32 v6, v11, v5
	v_fma_f32 v12, -v4, v6, v11
	v_fmac_f32_e32 v6, v12, v5
	v_fma_f32 v4, -v4, v6, v11
	v_div_fmas_f32 v4, v4, v5, v6
	v_fma_f32 v5, 0, v2, v1
	v_fma_f32 v2, v1, 0, -v2
	v_div_fixup_f32 v3, v4, v3, 1.0
	v_mul_f32_e32 v1, v5, v3
	v_mul_f32_e32 v2, v2, v3
	v_mov_b32_e32 v3, s26
	ds_write_b64 v3, v[1:2]
.LBB43_39:                              ;   in Loop: Header=BB43_10 Depth=1
	v_mov_b32_e32 v5, 2
	v_mov_b32_e32 v6, v8
	;; [unrolled: 1-line block ×3, first 2 shown]
.LBB43_40:                              ;   in Loop: Header=BB43_10 Depth=1
	s_or_b32 exec_lo, exec_lo, s0
	v_mov_b32_e32 v9, v11
	v_mov_b32_e32 v8, v6
	s_mov_b32 s0, -1
	s_mov_b32 s1, -1
	s_mov_b32 s27, exec_lo
	v_cmpx_gt_i32_e32 4, v5
; %bb.41:                               ;   in Loop: Header=BB43_10 Depth=1
	v_cmp_eq_u32_e32 vcc_lo, 0, v5
	s_orn2_b32 s1, vcc_lo, exec_lo
; %bb.42:                               ;   in Loop: Header=BB43_10 Depth=1
	s_or_b32 exec_lo, exec_lo, s27
	s_and_saveexec_b32 s27, s1
	s_cbranch_execz .LBB43_9
; %bb.43:                               ;   in Loop: Header=BB43_10 Depth=1
	v_add_nc_u32_e32 v0, 32, v0
	v_cmp_le_i32_e32 vcc_lo, s23, v0
	s_orn2_b32 s0, vcc_lo, exec_lo
	s_branch .LBB43_9
.LBB43_44:
	s_or_b32 exec_lo, exec_lo, s24
.LBB43_45:
	s_or_b32 exec_lo, exec_lo, s22
	v_mbcnt_lo_u32_b32 v0, -1, 0
	s_cmp_lg_u32 s10, 0
	v_xor_b32_e32 v1, 16, v0
	v_xor_b32_e32 v3, 8, v0
	;; [unrolled: 1-line block ×3, first 2 shown]
	v_cmp_gt_i32_e32 vcc_lo, 32, v1
	v_cndmask_b32_e32 v1, v0, v1, vcc_lo
	v_cmp_gt_i32_e32 vcc_lo, 32, v3
	v_lshlrev_b32_e32 v1, 2, v1
	v_cndmask_b32_e32 v3, v0, v3, vcc_lo
	v_cmp_gt_i32_e32 vcc_lo, 32, v5
	ds_bpermute_b32 v2, v1, v8
	ds_bpermute_b32 v1, v1, v9
	v_lshlrev_b32_e32 v3, 2, v3
	v_cndmask_b32_e32 v5, v0, v5, vcc_lo
	v_lshlrev_b32_e32 v5, 2, v5
	s_waitcnt lgkmcnt(1)
	v_add_f32_e32 v2, v8, v2
	s_waitcnt lgkmcnt(0)
	v_add_f32_e32 v1, v9, v1
	ds_bpermute_b32 v4, v3, v2
	ds_bpermute_b32 v3, v3, v1
	s_waitcnt lgkmcnt(1)
	v_add_f32_e32 v2, v2, v4
	s_waitcnt lgkmcnt(0)
	v_add_f32_e32 v1, v1, v3
	ds_bpermute_b32 v3, v5, v2
	ds_bpermute_b32 v4, v5, v1
	v_xor_b32_e32 v5, 2, v0
	v_cmp_gt_i32_e32 vcc_lo, 32, v5
	v_cndmask_b32_e32 v5, v0, v5, vcc_lo
	v_lshlrev_b32_e32 v5, 2, v5
	s_waitcnt lgkmcnt(1)
	v_add_f32_e32 v2, v2, v3
	s_waitcnt lgkmcnt(0)
	v_add_f32_e32 v1, v1, v4
	ds_bpermute_b32 v3, v5, v2
	ds_bpermute_b32 v4, v5, v1
	v_xor_b32_e32 v5, 1, v0
	v_cmp_gt_i32_e32 vcc_lo, 32, v5
	v_cndmask_b32_e32 v0, v0, v5, vcc_lo
	v_lshlrev_b32_e32 v0, 2, v0
	s_waitcnt lgkmcnt(1)
	v_add_f32_e32 v2, v2, v3
	s_waitcnt lgkmcnt(0)
	v_add_f32_e32 v1, v1, v4
	ds_bpermute_b32 v3, v0, v2
	ds_bpermute_b32 v4, v0, v1
	s_waitcnt lgkmcnt(1)
	v_add_f32_e32 v0, v2, v3
	s_waitcnt lgkmcnt(0)
	v_add_f32_e32 v1, v1, v4
	s_cbranch_scc1 .LBB43_47
; %bb.46:
	s_lshl_b32 s0, s11, 3
	s_waitcnt_vscnt null, 0x0
	buffer_gl0_inv
	v_mov_b32_e32 v2, s0
	ds_read_b64 v[2:3], v2
	s_waitcnt lgkmcnt(0)
	v_mul_f32_e64 v4, v3, -v1
	v_mul_f32_e32 v3, v0, v3
	v_fmac_f32_e32 v4, v0, v2
	v_fmac_f32_e32 v3, v1, v2
	v_mov_b32_e32 v0, v4
	v_mov_b32_e32 v1, v3
.LBB43_47:
	s_mov_b32 s0, exec_lo
	v_cmpx_eq_u32_e32 31, v7
	s_cbranch_execz .LBB43_49
; %bb.48:
	s_lshl_b64 s[0:1], s[18:19], 3
	v_mov_b32_e32 v2, 0
	s_add_u32 s0, s12, s0
	v_mov_b32_e32 v3, 1
	s_addc_u32 s1, s13, s1
	s_add_u32 s2, s14, s16
	s_addc_u32 s3, s15, s17
	global_store_dwordx2 v2, v[0:1], s[0:1] glc slc
	s_waitcnt_vscnt null, 0x0
	global_store_dword v2, v3, s[2:3]
.LBB43_49:
	s_endpgm
	.section	.rodata,"a",@progbits
	.p2align	6, 0x0
	.amdhsa_kernel _ZN9rocsparseL12csrsv_kernelILj1024ELj32ELb0Eil21rocsparse_complex_numIfEEEvT3_NS_24const_host_device_scalarIT4_EEPKT2_PKS3_PKS5_SD_lPS5_PiSB_iPS3_21rocsparse_index_base_20rocsparse_fill_mode_20rocsparse_diag_type_b
		.amdhsa_group_segment_fixed_size 256
		.amdhsa_private_segment_fixed_size 0
		.amdhsa_kernarg_size 112
		.amdhsa_user_sgpr_count 6
		.amdhsa_user_sgpr_private_segment_buffer 1
		.amdhsa_user_sgpr_dispatch_ptr 0
		.amdhsa_user_sgpr_queue_ptr 0
		.amdhsa_user_sgpr_kernarg_segment_ptr 1
		.amdhsa_user_sgpr_dispatch_id 0
		.amdhsa_user_sgpr_flat_scratch_init 0
		.amdhsa_user_sgpr_private_segment_size 0
		.amdhsa_wavefront_size32 1
		.amdhsa_uses_dynamic_stack 0
		.amdhsa_system_sgpr_private_segment_wavefront_offset 0
		.amdhsa_system_sgpr_workgroup_id_x 1
		.amdhsa_system_sgpr_workgroup_id_y 0
		.amdhsa_system_sgpr_workgroup_id_z 0
		.amdhsa_system_sgpr_workgroup_info 0
		.amdhsa_system_vgpr_workitem_id 0
		.amdhsa_next_free_vgpr 15
		.amdhsa_next_free_sgpr 30
		.amdhsa_reserve_vcc 1
		.amdhsa_reserve_flat_scratch 0
		.amdhsa_float_round_mode_32 0
		.amdhsa_float_round_mode_16_64 0
		.amdhsa_float_denorm_mode_32 3
		.amdhsa_float_denorm_mode_16_64 3
		.amdhsa_dx10_clamp 1
		.amdhsa_ieee_mode 1
		.amdhsa_fp16_overflow 0
		.amdhsa_workgroup_processor_mode 1
		.amdhsa_memory_ordered 1
		.amdhsa_forward_progress 1
		.amdhsa_shared_vgpr_count 0
		.amdhsa_exception_fp_ieee_invalid_op 0
		.amdhsa_exception_fp_denorm_src 0
		.amdhsa_exception_fp_ieee_div_zero 0
		.amdhsa_exception_fp_ieee_overflow 0
		.amdhsa_exception_fp_ieee_underflow 0
		.amdhsa_exception_fp_ieee_inexact 0
		.amdhsa_exception_int_div_zero 0
	.end_amdhsa_kernel
	.section	.text._ZN9rocsparseL12csrsv_kernelILj1024ELj32ELb0Eil21rocsparse_complex_numIfEEEvT3_NS_24const_host_device_scalarIT4_EEPKT2_PKS3_PKS5_SD_lPS5_PiSB_iPS3_21rocsparse_index_base_20rocsparse_fill_mode_20rocsparse_diag_type_b,"axG",@progbits,_ZN9rocsparseL12csrsv_kernelILj1024ELj32ELb0Eil21rocsparse_complex_numIfEEEvT3_NS_24const_host_device_scalarIT4_EEPKT2_PKS3_PKS5_SD_lPS5_PiSB_iPS3_21rocsparse_index_base_20rocsparse_fill_mode_20rocsparse_diag_type_b,comdat
.Lfunc_end43:
	.size	_ZN9rocsparseL12csrsv_kernelILj1024ELj32ELb0Eil21rocsparse_complex_numIfEEEvT3_NS_24const_host_device_scalarIT4_EEPKT2_PKS3_PKS5_SD_lPS5_PiSB_iPS3_21rocsparse_index_base_20rocsparse_fill_mode_20rocsparse_diag_type_b, .Lfunc_end43-_ZN9rocsparseL12csrsv_kernelILj1024ELj32ELb0Eil21rocsparse_complex_numIfEEEvT3_NS_24const_host_device_scalarIT4_EEPKT2_PKS3_PKS5_SD_lPS5_PiSB_iPS3_21rocsparse_index_base_20rocsparse_fill_mode_20rocsparse_diag_type_b
                                        ; -- End function
	.set _ZN9rocsparseL12csrsv_kernelILj1024ELj32ELb0Eil21rocsparse_complex_numIfEEEvT3_NS_24const_host_device_scalarIT4_EEPKT2_PKS3_PKS5_SD_lPS5_PiSB_iPS3_21rocsparse_index_base_20rocsparse_fill_mode_20rocsparse_diag_type_b.num_vgpr, 15
	.set _ZN9rocsparseL12csrsv_kernelILj1024ELj32ELb0Eil21rocsparse_complex_numIfEEEvT3_NS_24const_host_device_scalarIT4_EEPKT2_PKS3_PKS5_SD_lPS5_PiSB_iPS3_21rocsparse_index_base_20rocsparse_fill_mode_20rocsparse_diag_type_b.num_agpr, 0
	.set _ZN9rocsparseL12csrsv_kernelILj1024ELj32ELb0Eil21rocsparse_complex_numIfEEEvT3_NS_24const_host_device_scalarIT4_EEPKT2_PKS3_PKS5_SD_lPS5_PiSB_iPS3_21rocsparse_index_base_20rocsparse_fill_mode_20rocsparse_diag_type_b.numbered_sgpr, 30
	.set _ZN9rocsparseL12csrsv_kernelILj1024ELj32ELb0Eil21rocsparse_complex_numIfEEEvT3_NS_24const_host_device_scalarIT4_EEPKT2_PKS3_PKS5_SD_lPS5_PiSB_iPS3_21rocsparse_index_base_20rocsparse_fill_mode_20rocsparse_diag_type_b.num_named_barrier, 0
	.set _ZN9rocsparseL12csrsv_kernelILj1024ELj32ELb0Eil21rocsparse_complex_numIfEEEvT3_NS_24const_host_device_scalarIT4_EEPKT2_PKS3_PKS5_SD_lPS5_PiSB_iPS3_21rocsparse_index_base_20rocsparse_fill_mode_20rocsparse_diag_type_b.private_seg_size, 0
	.set _ZN9rocsparseL12csrsv_kernelILj1024ELj32ELb0Eil21rocsparse_complex_numIfEEEvT3_NS_24const_host_device_scalarIT4_EEPKT2_PKS3_PKS5_SD_lPS5_PiSB_iPS3_21rocsparse_index_base_20rocsparse_fill_mode_20rocsparse_diag_type_b.uses_vcc, 1
	.set _ZN9rocsparseL12csrsv_kernelILj1024ELj32ELb0Eil21rocsparse_complex_numIfEEEvT3_NS_24const_host_device_scalarIT4_EEPKT2_PKS3_PKS5_SD_lPS5_PiSB_iPS3_21rocsparse_index_base_20rocsparse_fill_mode_20rocsparse_diag_type_b.uses_flat_scratch, 0
	.set _ZN9rocsparseL12csrsv_kernelILj1024ELj32ELb0Eil21rocsparse_complex_numIfEEEvT3_NS_24const_host_device_scalarIT4_EEPKT2_PKS3_PKS5_SD_lPS5_PiSB_iPS3_21rocsparse_index_base_20rocsparse_fill_mode_20rocsparse_diag_type_b.has_dyn_sized_stack, 0
	.set _ZN9rocsparseL12csrsv_kernelILj1024ELj32ELb0Eil21rocsparse_complex_numIfEEEvT3_NS_24const_host_device_scalarIT4_EEPKT2_PKS3_PKS5_SD_lPS5_PiSB_iPS3_21rocsparse_index_base_20rocsparse_fill_mode_20rocsparse_diag_type_b.has_recursion, 0
	.set _ZN9rocsparseL12csrsv_kernelILj1024ELj32ELb0Eil21rocsparse_complex_numIfEEEvT3_NS_24const_host_device_scalarIT4_EEPKT2_PKS3_PKS5_SD_lPS5_PiSB_iPS3_21rocsparse_index_base_20rocsparse_fill_mode_20rocsparse_diag_type_b.has_indirect_call, 0
	.section	.AMDGPU.csdata,"",@progbits
; Kernel info:
; codeLenInByte = 1692
; TotalNumSgprs: 32
; NumVgprs: 15
; ScratchSize: 0
; MemoryBound: 0
; FloatMode: 240
; IeeeMode: 1
; LDSByteSize: 256 bytes/workgroup (compile time only)
; SGPRBlocks: 0
; VGPRBlocks: 1
; NumSGPRsForWavesPerEU: 32
; NumVGPRsForWavesPerEU: 15
; Occupancy: 16
; WaveLimiterHint : 1
; COMPUTE_PGM_RSRC2:SCRATCH_EN: 0
; COMPUTE_PGM_RSRC2:USER_SGPR: 6
; COMPUTE_PGM_RSRC2:TRAP_HANDLER: 0
; COMPUTE_PGM_RSRC2:TGID_X_EN: 1
; COMPUTE_PGM_RSRC2:TGID_Y_EN: 0
; COMPUTE_PGM_RSRC2:TGID_Z_EN: 0
; COMPUTE_PGM_RSRC2:TIDIG_COMP_CNT: 0
	.section	.text._ZN9rocsparseL12csrsv_kernelILj1024ELj64ELb0Eil21rocsparse_complex_numIfEEEvT3_NS_24const_host_device_scalarIT4_EEPKT2_PKS3_PKS5_SD_lPS5_PiSB_iPS3_21rocsparse_index_base_20rocsparse_fill_mode_20rocsparse_diag_type_b,"axG",@progbits,_ZN9rocsparseL12csrsv_kernelILj1024ELj64ELb0Eil21rocsparse_complex_numIfEEEvT3_NS_24const_host_device_scalarIT4_EEPKT2_PKS3_PKS5_SD_lPS5_PiSB_iPS3_21rocsparse_index_base_20rocsparse_fill_mode_20rocsparse_diag_type_b,comdat
	.globl	_ZN9rocsparseL12csrsv_kernelILj1024ELj64ELb0Eil21rocsparse_complex_numIfEEEvT3_NS_24const_host_device_scalarIT4_EEPKT2_PKS3_PKS5_SD_lPS5_PiSB_iPS3_21rocsparse_index_base_20rocsparse_fill_mode_20rocsparse_diag_type_b ; -- Begin function _ZN9rocsparseL12csrsv_kernelILj1024ELj64ELb0Eil21rocsparse_complex_numIfEEEvT3_NS_24const_host_device_scalarIT4_EEPKT2_PKS3_PKS5_SD_lPS5_PiSB_iPS3_21rocsparse_index_base_20rocsparse_fill_mode_20rocsparse_diag_type_b
	.p2align	8
	.type	_ZN9rocsparseL12csrsv_kernelILj1024ELj64ELb0Eil21rocsparse_complex_numIfEEEvT3_NS_24const_host_device_scalarIT4_EEPKT2_PKS3_PKS5_SD_lPS5_PiSB_iPS3_21rocsparse_index_base_20rocsparse_fill_mode_20rocsparse_diag_type_b,@function
_ZN9rocsparseL12csrsv_kernelILj1024ELj64ELb0Eil21rocsparse_complex_numIfEEEvT3_NS_24const_host_device_scalarIT4_EEPKT2_PKS3_PKS5_SD_lPS5_PiSB_iPS3_21rocsparse_index_base_20rocsparse_fill_mode_20rocsparse_diag_type_b: ; @_ZN9rocsparseL12csrsv_kernelILj1024ELj64ELb0Eil21rocsparse_complex_numIfEEEvT3_NS_24const_host_device_scalarIT4_EEPKT2_PKS3_PKS5_SD_lPS5_PiSB_iPS3_21rocsparse_index_base_20rocsparse_fill_mode_20rocsparse_diag_type_b
; %bb.0:
	s_clause 0x1
	s_load_dwordx4 s[8:11], s[4:5], 0x60
	s_load_dwordx4 s[0:3], s[4:5], 0x0
	s_waitcnt lgkmcnt(0)
	s_bitcmp1_b32 s11, 0
	s_mov_b32 s20, s2
	s_cselect_b32 s11, -1, 0
	s_xor_b32 s7, s11, -1
	s_and_b32 vcc_lo, exec_lo, s11
	s_cbranch_vccnz .LBB44_2
; %bb.1:
	s_load_dword s20, s[2:3], 0x0
.LBB44_2:
	s_andn2_b32 vcc_lo, exec_lo, s7
	s_cbranch_vccnz .LBB44_4
; %bb.3:
	s_load_dword s3, s[2:3], 0x4
.LBB44_4:
	v_readfirstlane_b32 s2, v0
	s_lshl_b32 s6, s6, 4
	s_mov_b32 s7, 0
	s_lshr_b32 s11, s2, 6
	s_add_i32 s6, s11, s6
	v_cmp_le_i64_e64 s0, s[0:1], s[6:7]
	s_and_b32 vcc_lo, exec_lo, s0
	s_cbranch_vccnz .LBB44_49
; %bb.5:
	s_clause 0x1
	s_load_dword s0, s[4:5], 0x50
	s_load_dwordx2 s[12:13], s[4:5], 0x48
	s_lshl_b64 s[6:7], s[6:7], 3
	v_and_b32_e32 v7, 63, v0
	v_mov_b32_e32 v8, 0
	v_mov_b32_e32 v9, 0
	s_waitcnt lgkmcnt(0)
	s_ashr_i32 s1, s0, 31
	s_add_u32 s2, s12, s6
	s_addc_u32 s6, s13, s7
	s_lshl_b64 s[0:1], s[0:1], 3
	s_add_u32 s0, s2, s0
	s_addc_u32 s1, s6, s1
	s_load_dwordx2 s[18:19], s[0:1], 0x0
	s_load_dwordx2 s[0:1], s[4:5], 0x10
	s_mov_b32 s2, exec_lo
	s_waitcnt lgkmcnt(0)
	s_lshl_b64 s[16:17], s[18:19], 2
	s_add_u32 s0, s0, s16
	s_addc_u32 s1, s1, s17
	s_load_dwordx4 s[12:15], s[4:5], 0x38
	s_load_dwordx2 s[0:1], s[0:1], 0x0
	v_cmpx_eq_u32_e32 0, v7
	s_cbranch_execz .LBB44_7
; %bb.6:
	s_load_dwordx4 s[24:27], s[4:5], 0x28
	s_waitcnt lgkmcnt(0)
	s_mul_i32 s6, s18, s27
	s_mul_hi_u32 s7, s18, s26
	s_mul_i32 s21, s19, s26
	s_add_i32 s7, s7, s6
	s_mul_i32 s6, s18, s26
	s_add_i32 s7, s7, s21
	s_lshl_b64 s[6:7], s[6:7], 3
	s_add_u32 s6, s24, s6
	s_addc_u32 s7, s25, s7
	s_load_dwordx2 s[6:7], s[6:7], 0x0
	s_waitcnt lgkmcnt(0)
	v_mul_f32_e64 v8, s7, -s3
	v_mul_f32_e64 v9, s7, s20
	v_fmac_f32_e64 v8, s20, s6
	v_fmac_f32_e64 v9, s3, s6
.LBB44_7:
	s_or_b32 exec_lo, exec_lo, s2
	v_subrev_nc_u32_e32 v0, s8, v7
	s_waitcnt lgkmcnt(0)
	s_sub_i32 s23, s1, s8
	s_mov_b32 s22, exec_lo
	v_add_nc_u32_e32 v0, s0, v0
	v_cmpx_gt_i32_e64 s23, v0
	s_cbranch_execz .LBB44_45
; %bb.8:
	s_clause 0x1
	s_load_dwordx2 s[2:3], s[4:5], 0x58
	s_load_dwordx4 s[4:7], s[4:5], 0x18
	s_cmp_eq_u32 s10, 0
	v_mov_b32_e32 v10, 0
	s_cselect_b32 s25, -1, 0
	s_add_u32 s20, s18, s8
	s_mov_b32 s24, 0
	s_addc_u32 s21, s19, 0
	s_lshl_b32 s26, s11, 3
	s_branch .LBB44_10
.LBB44_9:                               ;   in Loop: Header=BB44_10 Depth=1
	s_or_b32 exec_lo, exec_lo, s27
	s_and_b32 s0, exec_lo, s0
	s_or_b32 s24, s0, s24
	s_andn2_b32 exec_lo, exec_lo, s24
	s_cbranch_execz .LBB44_44
.LBB44_10:                              ; =>This Loop Header: Depth=1
                                        ;     Child Loop BB44_34 Depth 2
	v_ashrrev_i32_e32 v1, 31, v0
	v_lshlrev_b64 v[1:2], 3, v[0:1]
	s_waitcnt lgkmcnt(0)
	v_add_co_u32 v3, vcc_lo, s4, v1
	v_add_co_ci_u32_e64 v4, null, s5, v2, vcc_lo
	v_add_co_u32 v1, vcc_lo, s6, v1
	v_add_co_ci_u32_e64 v2, null, s7, v2, vcc_lo
	global_load_dwordx2 v[3:4], v[3:4], off slc
	global_load_dwordx2 v[1:2], v[1:2], off slc
	s_waitcnt vmcnt(1)
	v_sub_co_u32 v3, vcc_lo, v3, s8
	v_subrev_co_ci_u32_e64 v4, null, 0, v4, vcc_lo
	s_waitcnt vmcnt(0)
	v_cmp_eq_f32_e64 s0, 0, v1
	v_cmp_eq_f32_e64 s1, 0, v2
	v_cmp_eq_u64_e32 vcc_lo, s[18:19], v[3:4]
	s_and_b32 s1, s0, s1
	v_cmp_ne_u64_e64 s0, s[18:19], v[3:4]
	s_and_b32 s1, s1, vcc_lo
	s_and_b32 s1, s25, s1
	s_and_saveexec_b32 s27, s1
	s_cbranch_execz .LBB44_14
; %bb.11:                               ;   in Loop: Header=BB44_10 Depth=1
	v_mbcnt_lo_u32_b32 v1, exec_lo, 0
	s_mov_b32 s28, exec_lo
	v_cmpx_eq_u32_e32 0, v1
	s_cbranch_execz .LBB44_13
; %bb.12:                               ;   in Loop: Header=BB44_10 Depth=1
	v_mov_b32_e32 v1, s20
	v_mov_b32_e32 v2, s21
	global_atomic_umin_x2 v10, v[1:2], s[2:3]
.LBB44_13:                              ;   in Loop: Header=BB44_10 Depth=1
	s_or_b32 exec_lo, exec_lo, s28
	v_mov_b32_e32 v2, 0
	v_mov_b32_e32 v1, 1.0
.LBB44_14:                              ;   in Loop: Header=BB44_10 Depth=1
	s_or_b32 exec_lo, exec_lo, s27
	s_mov_b32 s1, -1
	s_mov_b32 s27, 0
	s_cmp_lt_i32 s9, 1
	s_mov_b32 s28, 0
	s_cbranch_scc1 .LBB44_24
; %bb.15:                               ;   in Loop: Header=BB44_10 Depth=1
	s_cmp_eq_u32 s9, 1
	s_mov_b32 s28, -1
	s_cbranch_scc0 .LBB44_23
; %bb.16:                               ;   in Loop: Header=BB44_10 Depth=1
	s_mov_b32 s28, 0
	s_mov_b32 s29, exec_lo
	v_cmpx_le_i64_e64 s[18:19], v[3:4]
	s_cbranch_execz .LBB44_22
; %bb.17:                               ;   in Loop: Header=BB44_10 Depth=1
	s_mov_b32 s28, -1
	s_and_saveexec_b32 s1, vcc_lo
	s_xor_b32 s1, exec_lo, s1
	s_cbranch_execz .LBB44_21
; %bb.18:                               ;   in Loop: Header=BB44_10 Depth=1
	s_andn2_b32 vcc_lo, exec_lo, s25
	s_cbranch_vccnz .LBB44_20
; %bb.19:                               ;   in Loop: Header=BB44_10 Depth=1
	v_mul_f32_e32 v5, v2, v2
	v_fmac_f32_e32 v5, v1, v1
	v_div_scale_f32 v6, null, v5, v5, 1.0
	v_div_scale_f32 v13, vcc_lo, 1.0, v5, 1.0
	v_rcp_f32_e32 v11, v6
	v_fma_f32 v12, -v6, v11, 1.0
	v_fmac_f32_e32 v11, v12, v11
	v_mul_f32_e32 v12, v13, v11
	v_fma_f32 v14, -v6, v12, v13
	v_fmac_f32_e32 v12, v14, v11
	v_fma_f32 v6, -v6, v12, v13
	v_div_fmas_f32 v6, v6, v11, v12
	v_fma_f32 v11, 0, v2, v1
	v_fma_f32 v12, v1, 0, -v2
	v_div_fixup_f32 v6, v6, v5, 1.0
	v_mul_f32_e32 v5, v11, v6
	v_mul_f32_e32 v6, v12, v6
	v_mov_b32_e32 v11, s26
	ds_write_b64 v11, v[5:6]
.LBB44_20:                              ;   in Loop: Header=BB44_10 Depth=1
	s_xor_b32 s28, exec_lo, -1
.LBB44_21:                              ;   in Loop: Header=BB44_10 Depth=1
	s_or_b32 exec_lo, exec_lo, s1
	s_and_b32 s28, s28, exec_lo
.LBB44_22:                              ;   in Loop: Header=BB44_10 Depth=1
	s_or_b32 exec_lo, exec_lo, s29
.LBB44_23:                              ;   in Loop: Header=BB44_10 Depth=1
	s_mov_b32 s1, 0
.LBB44_24:                              ;   in Loop: Header=BB44_10 Depth=1
	s_and_b32 vcc_lo, exec_lo, s1
	s_mov_b32 s1, 4
	s_cbranch_vccz .LBB44_31
; %bb.25:                               ;   in Loop: Header=BB44_10 Depth=1
	s_cmp_eq_u32 s9, 0
	s_cbranch_scc1 .LBB44_27
; %bb.26:                               ;   in Loop: Header=BB44_10 Depth=1
	s_mov_b32 s28, -1
	s_branch .LBB44_30
.LBB44_27:                              ;   in Loop: Header=BB44_10 Depth=1
	s_mov_b32 s28, 0
	s_mov_b32 s1, exec_lo
	v_cmpx_ge_i64_e64 s[18:19], v[3:4]
; %bb.28:                               ;   in Loop: Header=BB44_10 Depth=1
	s_mov_b32 s27, exec_lo
	s_and_b32 s28, s0, exec_lo
; %bb.29:                               ;   in Loop: Header=BB44_10 Depth=1
	s_or_b32 exec_lo, exec_lo, s1
.LBB44_30:                              ;   in Loop: Header=BB44_10 Depth=1
	s_mov_b32 s1, 2
.LBB44_31:                              ;   in Loop: Header=BB44_10 Depth=1
	v_mov_b32_e32 v5, s1
	v_mov_b32_e32 v11, v9
	;; [unrolled: 1-line block ×3, first 2 shown]
	s_and_saveexec_b32 s0, s28
	s_cbranch_execz .LBB44_36
; %bb.32:                               ;   in Loop: Header=BB44_10 Depth=1
	v_lshlrev_b64 v[5:6], 2, v[3:4]
	s_mov_b32 s1, exec_lo
	v_add_co_u32 v5, vcc_lo, s14, v5
	v_add_co_ci_u32_e64 v6, null, s15, v6, vcc_lo
	global_load_dword v11, v[5:6], off glc dlc
	s_waitcnt vmcnt(0)
	v_cmpx_eq_u32_e32 0, v11
	s_cbranch_execz .LBB44_35
; %bb.33:                               ;   in Loop: Header=BB44_10 Depth=1
	s_mov_b32 s28, 0
.LBB44_34:                              ;   Parent Loop BB44_10 Depth=1
                                        ; =>  This Inner Loop Header: Depth=2
	global_load_dword v11, v[5:6], off glc dlc
	s_waitcnt vmcnt(0)
	v_cmp_ne_u32_e32 vcc_lo, 0, v11
	s_or_b32 s28, vcc_lo, s28
	s_andn2_b32 exec_lo, exec_lo, s28
	s_cbranch_execnz .LBB44_34
.LBB44_35:                              ;   in Loop: Header=BB44_10 Depth=1
	s_or_b32 exec_lo, exec_lo, s1
	v_lshlrev_b64 v[3:4], 3, v[3:4]
	s_waitcnt lgkmcnt(0)
	s_waitcnt_vscnt null, 0x0
	buffer_gl1_inv
	buffer_gl0_inv
	v_mov_b32_e32 v5, 0
	s_andn2_b32 s27, s27, exec_lo
	v_add_co_u32 v3, vcc_lo, s12, v3
	v_add_co_ci_u32_e64 v4, null, s13, v4, vcc_lo
	global_load_dwordx2 v[3:4], v[3:4], off
	s_waitcnt vmcnt(0)
	v_fma_f32 v6, -v1, v3, v8
	v_fma_f32 v3, -v2, v3, v9
	v_fmac_f32_e32 v6, v2, v4
	v_fma_f32 v11, -v1, v4, v3
.LBB44_36:                              ;   in Loop: Header=BB44_10 Depth=1
	s_or_b32 exec_lo, exec_lo, s0
	s_and_saveexec_b32 s0, s27
	s_cbranch_execz .LBB44_40
; %bb.37:                               ;   in Loop: Header=BB44_10 Depth=1
	s_andn2_b32 vcc_lo, exec_lo, s25
	s_cbranch_vccnz .LBB44_39
; %bb.38:                               ;   in Loop: Header=BB44_10 Depth=1
	v_mul_f32_e32 v3, v2, v2
	v_fmac_f32_e32 v3, v1, v1
	v_div_scale_f32 v4, null, v3, v3, 1.0
	v_div_scale_f32 v11, vcc_lo, 1.0, v3, 1.0
	v_rcp_f32_e32 v5, v4
	v_fma_f32 v6, -v4, v5, 1.0
	v_fmac_f32_e32 v5, v6, v5
	v_mul_f32_e32 v6, v11, v5
	v_fma_f32 v12, -v4, v6, v11
	v_fmac_f32_e32 v6, v12, v5
	v_fma_f32 v4, -v4, v6, v11
	v_div_fmas_f32 v4, v4, v5, v6
	v_fma_f32 v5, 0, v2, v1
	v_fma_f32 v2, v1, 0, -v2
	v_div_fixup_f32 v3, v4, v3, 1.0
	v_mul_f32_e32 v1, v5, v3
	v_mul_f32_e32 v2, v2, v3
	v_mov_b32_e32 v3, s26
	ds_write_b64 v3, v[1:2]
.LBB44_39:                              ;   in Loop: Header=BB44_10 Depth=1
	v_mov_b32_e32 v5, 2
	v_mov_b32_e32 v6, v8
	;; [unrolled: 1-line block ×3, first 2 shown]
.LBB44_40:                              ;   in Loop: Header=BB44_10 Depth=1
	s_or_b32 exec_lo, exec_lo, s0
	v_mov_b32_e32 v9, v11
	v_mov_b32_e32 v8, v6
	s_mov_b32 s0, -1
	s_mov_b32 s1, -1
	s_mov_b32 s27, exec_lo
	v_cmpx_gt_i32_e32 4, v5
; %bb.41:                               ;   in Loop: Header=BB44_10 Depth=1
	v_cmp_eq_u32_e32 vcc_lo, 0, v5
	s_orn2_b32 s1, vcc_lo, exec_lo
; %bb.42:                               ;   in Loop: Header=BB44_10 Depth=1
	s_or_b32 exec_lo, exec_lo, s27
	s_and_saveexec_b32 s27, s1
	s_cbranch_execz .LBB44_9
; %bb.43:                               ;   in Loop: Header=BB44_10 Depth=1
	v_add_nc_u32_e32 v0, 64, v0
	v_cmp_le_i32_e32 vcc_lo, s23, v0
	s_orn2_b32 s0, vcc_lo, exec_lo
	s_branch .LBB44_9
.LBB44_44:
	s_or_b32 exec_lo, exec_lo, s24
.LBB44_45:
	s_or_b32 exec_lo, exec_lo, s22
	v_mbcnt_lo_u32_b32 v0, -1, 0
	s_cmp_lg_u32 s10, 0
	v_or_b32_e32 v1, 32, v0
	v_xor_b32_e32 v3, 16, v0
	v_xor_b32_e32 v5, 8, v0
	v_cmp_gt_i32_e32 vcc_lo, 32, v1
	v_cndmask_b32_e32 v1, v0, v1, vcc_lo
	v_cmp_gt_i32_e32 vcc_lo, 32, v3
	v_lshlrev_b32_e32 v1, 2, v1
	v_cndmask_b32_e32 v3, v0, v3, vcc_lo
	v_cmp_gt_i32_e32 vcc_lo, 32, v5
	ds_bpermute_b32 v2, v1, v8
	ds_bpermute_b32 v1, v1, v9
	v_lshlrev_b32_e32 v3, 2, v3
	v_cndmask_b32_e32 v5, v0, v5, vcc_lo
	v_lshlrev_b32_e32 v5, 2, v5
	s_waitcnt lgkmcnt(1)
	v_add_f32_e32 v2, v8, v2
	s_waitcnt lgkmcnt(0)
	v_add_f32_e32 v1, v9, v1
	ds_bpermute_b32 v4, v3, v2
	ds_bpermute_b32 v3, v3, v1
	s_waitcnt lgkmcnt(1)
	v_add_f32_e32 v2, v2, v4
	s_waitcnt lgkmcnt(0)
	v_add_f32_e32 v1, v1, v3
	ds_bpermute_b32 v3, v5, v2
	ds_bpermute_b32 v4, v5, v1
	v_xor_b32_e32 v5, 4, v0
	v_cmp_gt_i32_e32 vcc_lo, 32, v5
	v_cndmask_b32_e32 v5, v0, v5, vcc_lo
	v_lshlrev_b32_e32 v5, 2, v5
	s_waitcnt lgkmcnt(1)
	v_add_f32_e32 v2, v2, v3
	s_waitcnt lgkmcnt(0)
	v_add_f32_e32 v1, v1, v4
	ds_bpermute_b32 v3, v5, v2
	ds_bpermute_b32 v4, v5, v1
	v_xor_b32_e32 v5, 2, v0
	v_cmp_gt_i32_e32 vcc_lo, 32, v5
	v_cndmask_b32_e32 v5, v0, v5, vcc_lo
	v_lshlrev_b32_e32 v5, 2, v5
	;; [unrolled: 10-line block ×3, first 2 shown]
	s_waitcnt lgkmcnt(1)
	v_add_f32_e32 v2, v2, v3
	s_waitcnt lgkmcnt(0)
	v_add_f32_e32 v1, v1, v4
	ds_bpermute_b32 v3, v0, v2
	ds_bpermute_b32 v4, v0, v1
	s_waitcnt lgkmcnt(1)
	v_add_f32_e32 v0, v2, v3
	s_waitcnt lgkmcnt(0)
	v_add_f32_e32 v1, v1, v4
	s_cbranch_scc1 .LBB44_47
; %bb.46:
	s_lshl_b32 s0, s11, 3
	s_waitcnt_vscnt null, 0x0
	buffer_gl0_inv
	v_mov_b32_e32 v2, s0
	ds_read_b64 v[2:3], v2
	s_waitcnt lgkmcnt(0)
	v_mul_f32_e64 v4, v3, -v1
	v_mul_f32_e32 v3, v0, v3
	v_fmac_f32_e32 v4, v0, v2
	v_fmac_f32_e32 v3, v1, v2
	v_mov_b32_e32 v0, v4
	v_mov_b32_e32 v1, v3
.LBB44_47:
	s_mov_b32 s0, exec_lo
	v_cmpx_eq_u32_e32 63, v7
	s_cbranch_execz .LBB44_49
; %bb.48:
	s_lshl_b64 s[0:1], s[18:19], 3
	v_mov_b32_e32 v2, 0
	s_add_u32 s0, s12, s0
	v_mov_b32_e32 v3, 1
	s_addc_u32 s1, s13, s1
	s_add_u32 s2, s14, s16
	s_addc_u32 s3, s15, s17
	global_store_dwordx2 v2, v[0:1], s[0:1] glc slc
	s_waitcnt_vscnt null, 0x0
	global_store_dword v2, v3, s[2:3]
.LBB44_49:
	s_endpgm
	.section	.rodata,"a",@progbits
	.p2align	6, 0x0
	.amdhsa_kernel _ZN9rocsparseL12csrsv_kernelILj1024ELj64ELb0Eil21rocsparse_complex_numIfEEEvT3_NS_24const_host_device_scalarIT4_EEPKT2_PKS3_PKS5_SD_lPS5_PiSB_iPS3_21rocsparse_index_base_20rocsparse_fill_mode_20rocsparse_diag_type_b
		.amdhsa_group_segment_fixed_size 128
		.amdhsa_private_segment_fixed_size 0
		.amdhsa_kernarg_size 112
		.amdhsa_user_sgpr_count 6
		.amdhsa_user_sgpr_private_segment_buffer 1
		.amdhsa_user_sgpr_dispatch_ptr 0
		.amdhsa_user_sgpr_queue_ptr 0
		.amdhsa_user_sgpr_kernarg_segment_ptr 1
		.amdhsa_user_sgpr_dispatch_id 0
		.amdhsa_user_sgpr_flat_scratch_init 0
		.amdhsa_user_sgpr_private_segment_size 0
		.amdhsa_wavefront_size32 1
		.amdhsa_uses_dynamic_stack 0
		.amdhsa_system_sgpr_private_segment_wavefront_offset 0
		.amdhsa_system_sgpr_workgroup_id_x 1
		.amdhsa_system_sgpr_workgroup_id_y 0
		.amdhsa_system_sgpr_workgroup_id_z 0
		.amdhsa_system_sgpr_workgroup_info 0
		.amdhsa_system_vgpr_workitem_id 0
		.amdhsa_next_free_vgpr 15
		.amdhsa_next_free_sgpr 30
		.amdhsa_reserve_vcc 1
		.amdhsa_reserve_flat_scratch 0
		.amdhsa_float_round_mode_32 0
		.amdhsa_float_round_mode_16_64 0
		.amdhsa_float_denorm_mode_32 3
		.amdhsa_float_denorm_mode_16_64 3
		.amdhsa_dx10_clamp 1
		.amdhsa_ieee_mode 1
		.amdhsa_fp16_overflow 0
		.amdhsa_workgroup_processor_mode 1
		.amdhsa_memory_ordered 1
		.amdhsa_forward_progress 1
		.amdhsa_shared_vgpr_count 0
		.amdhsa_exception_fp_ieee_invalid_op 0
		.amdhsa_exception_fp_denorm_src 0
		.amdhsa_exception_fp_ieee_div_zero 0
		.amdhsa_exception_fp_ieee_overflow 0
		.amdhsa_exception_fp_ieee_underflow 0
		.amdhsa_exception_fp_ieee_inexact 0
		.amdhsa_exception_int_div_zero 0
	.end_amdhsa_kernel
	.section	.text._ZN9rocsparseL12csrsv_kernelILj1024ELj64ELb0Eil21rocsparse_complex_numIfEEEvT3_NS_24const_host_device_scalarIT4_EEPKT2_PKS3_PKS5_SD_lPS5_PiSB_iPS3_21rocsparse_index_base_20rocsparse_fill_mode_20rocsparse_diag_type_b,"axG",@progbits,_ZN9rocsparseL12csrsv_kernelILj1024ELj64ELb0Eil21rocsparse_complex_numIfEEEvT3_NS_24const_host_device_scalarIT4_EEPKT2_PKS3_PKS5_SD_lPS5_PiSB_iPS3_21rocsparse_index_base_20rocsparse_fill_mode_20rocsparse_diag_type_b,comdat
.Lfunc_end44:
	.size	_ZN9rocsparseL12csrsv_kernelILj1024ELj64ELb0Eil21rocsparse_complex_numIfEEEvT3_NS_24const_host_device_scalarIT4_EEPKT2_PKS3_PKS5_SD_lPS5_PiSB_iPS3_21rocsparse_index_base_20rocsparse_fill_mode_20rocsparse_diag_type_b, .Lfunc_end44-_ZN9rocsparseL12csrsv_kernelILj1024ELj64ELb0Eil21rocsparse_complex_numIfEEEvT3_NS_24const_host_device_scalarIT4_EEPKT2_PKS3_PKS5_SD_lPS5_PiSB_iPS3_21rocsparse_index_base_20rocsparse_fill_mode_20rocsparse_diag_type_b
                                        ; -- End function
	.set _ZN9rocsparseL12csrsv_kernelILj1024ELj64ELb0Eil21rocsparse_complex_numIfEEEvT3_NS_24const_host_device_scalarIT4_EEPKT2_PKS3_PKS5_SD_lPS5_PiSB_iPS3_21rocsparse_index_base_20rocsparse_fill_mode_20rocsparse_diag_type_b.num_vgpr, 15
	.set _ZN9rocsparseL12csrsv_kernelILj1024ELj64ELb0Eil21rocsparse_complex_numIfEEEvT3_NS_24const_host_device_scalarIT4_EEPKT2_PKS3_PKS5_SD_lPS5_PiSB_iPS3_21rocsparse_index_base_20rocsparse_fill_mode_20rocsparse_diag_type_b.num_agpr, 0
	.set _ZN9rocsparseL12csrsv_kernelILj1024ELj64ELb0Eil21rocsparse_complex_numIfEEEvT3_NS_24const_host_device_scalarIT4_EEPKT2_PKS3_PKS5_SD_lPS5_PiSB_iPS3_21rocsparse_index_base_20rocsparse_fill_mode_20rocsparse_diag_type_b.numbered_sgpr, 30
	.set _ZN9rocsparseL12csrsv_kernelILj1024ELj64ELb0Eil21rocsparse_complex_numIfEEEvT3_NS_24const_host_device_scalarIT4_EEPKT2_PKS3_PKS5_SD_lPS5_PiSB_iPS3_21rocsparse_index_base_20rocsparse_fill_mode_20rocsparse_diag_type_b.num_named_barrier, 0
	.set _ZN9rocsparseL12csrsv_kernelILj1024ELj64ELb0Eil21rocsparse_complex_numIfEEEvT3_NS_24const_host_device_scalarIT4_EEPKT2_PKS3_PKS5_SD_lPS5_PiSB_iPS3_21rocsparse_index_base_20rocsparse_fill_mode_20rocsparse_diag_type_b.private_seg_size, 0
	.set _ZN9rocsparseL12csrsv_kernelILj1024ELj64ELb0Eil21rocsparse_complex_numIfEEEvT3_NS_24const_host_device_scalarIT4_EEPKT2_PKS3_PKS5_SD_lPS5_PiSB_iPS3_21rocsparse_index_base_20rocsparse_fill_mode_20rocsparse_diag_type_b.uses_vcc, 1
	.set _ZN9rocsparseL12csrsv_kernelILj1024ELj64ELb0Eil21rocsparse_complex_numIfEEEvT3_NS_24const_host_device_scalarIT4_EEPKT2_PKS3_PKS5_SD_lPS5_PiSB_iPS3_21rocsparse_index_base_20rocsparse_fill_mode_20rocsparse_diag_type_b.uses_flat_scratch, 0
	.set _ZN9rocsparseL12csrsv_kernelILj1024ELj64ELb0Eil21rocsparse_complex_numIfEEEvT3_NS_24const_host_device_scalarIT4_EEPKT2_PKS3_PKS5_SD_lPS5_PiSB_iPS3_21rocsparse_index_base_20rocsparse_fill_mode_20rocsparse_diag_type_b.has_dyn_sized_stack, 0
	.set _ZN9rocsparseL12csrsv_kernelILj1024ELj64ELb0Eil21rocsparse_complex_numIfEEEvT3_NS_24const_host_device_scalarIT4_EEPKT2_PKS3_PKS5_SD_lPS5_PiSB_iPS3_21rocsparse_index_base_20rocsparse_fill_mode_20rocsparse_diag_type_b.has_recursion, 0
	.set _ZN9rocsparseL12csrsv_kernelILj1024ELj64ELb0Eil21rocsparse_complex_numIfEEEvT3_NS_24const_host_device_scalarIT4_EEPKT2_PKS3_PKS5_SD_lPS5_PiSB_iPS3_21rocsparse_index_base_20rocsparse_fill_mode_20rocsparse_diag_type_b.has_indirect_call, 0
	.section	.AMDGPU.csdata,"",@progbits
; Kernel info:
; codeLenInByte = 1740
; TotalNumSgprs: 32
; NumVgprs: 15
; ScratchSize: 0
; MemoryBound: 0
; FloatMode: 240
; IeeeMode: 1
; LDSByteSize: 128 bytes/workgroup (compile time only)
; SGPRBlocks: 0
; VGPRBlocks: 1
; NumSGPRsForWavesPerEU: 32
; NumVGPRsForWavesPerEU: 15
; Occupancy: 16
; WaveLimiterHint : 1
; COMPUTE_PGM_RSRC2:SCRATCH_EN: 0
; COMPUTE_PGM_RSRC2:USER_SGPR: 6
; COMPUTE_PGM_RSRC2:TRAP_HANDLER: 0
; COMPUTE_PGM_RSRC2:TGID_X_EN: 1
; COMPUTE_PGM_RSRC2:TGID_Y_EN: 0
; COMPUTE_PGM_RSRC2:TGID_Z_EN: 0
; COMPUTE_PGM_RSRC2:TIDIG_COMP_CNT: 0
	.section	.text._ZN9rocsparseL12csrsv_kernelILj1024ELj64ELb1Eil21rocsparse_complex_numIdEEEvT3_NS_24const_host_device_scalarIT4_EEPKT2_PKS3_PKS5_SD_lPS5_PiSB_iPS3_21rocsparse_index_base_20rocsparse_fill_mode_20rocsparse_diag_type_b,"axG",@progbits,_ZN9rocsparseL12csrsv_kernelILj1024ELj64ELb1Eil21rocsparse_complex_numIdEEEvT3_NS_24const_host_device_scalarIT4_EEPKT2_PKS3_PKS5_SD_lPS5_PiSB_iPS3_21rocsparse_index_base_20rocsparse_fill_mode_20rocsparse_diag_type_b,comdat
	.globl	_ZN9rocsparseL12csrsv_kernelILj1024ELj64ELb1Eil21rocsparse_complex_numIdEEEvT3_NS_24const_host_device_scalarIT4_EEPKT2_PKS3_PKS5_SD_lPS5_PiSB_iPS3_21rocsparse_index_base_20rocsparse_fill_mode_20rocsparse_diag_type_b ; -- Begin function _ZN9rocsparseL12csrsv_kernelILj1024ELj64ELb1Eil21rocsparse_complex_numIdEEEvT3_NS_24const_host_device_scalarIT4_EEPKT2_PKS3_PKS5_SD_lPS5_PiSB_iPS3_21rocsparse_index_base_20rocsparse_fill_mode_20rocsparse_diag_type_b
	.p2align	8
	.type	_ZN9rocsparseL12csrsv_kernelILj1024ELj64ELb1Eil21rocsparse_complex_numIdEEEvT3_NS_24const_host_device_scalarIT4_EEPKT2_PKS3_PKS5_SD_lPS5_PiSB_iPS3_21rocsparse_index_base_20rocsparse_fill_mode_20rocsparse_diag_type_b,@function
_ZN9rocsparseL12csrsv_kernelILj1024ELj64ELb1Eil21rocsparse_complex_numIdEEEvT3_NS_24const_host_device_scalarIT4_EEPKT2_PKS3_PKS5_SD_lPS5_PiSB_iPS3_21rocsparse_index_base_20rocsparse_fill_mode_20rocsparse_diag_type_b: ; @_ZN9rocsparseL12csrsv_kernelILj1024ELj64ELb1Eil21rocsparse_complex_numIdEEEvT3_NS_24const_host_device_scalarIT4_EEPKT2_PKS3_PKS5_SD_lPS5_PiSB_iPS3_21rocsparse_index_base_20rocsparse_fill_mode_20rocsparse_diag_type_b
; %bb.0:
	s_add_u32 s6, s6, s9
	s_addc_u32 s7, s7, 0
	s_setreg_b32 hwreg(HW_REG_FLAT_SCR_LO), s6
	s_setreg_b32 hwreg(HW_REG_FLAT_SCR_HI), s7
	s_clause 0x2
	s_load_dwordx4 s[12:15], s[4:5], 0x68
	s_load_dwordx4 s[16:19], s[4:5], 0x0
	s_load_dwordx2 s[10:11], s[4:5], 0x10
	s_add_u32 s0, s0, s9
	s_addc_u32 s1, s1, 0
	s_mov_b64 s[6:7], src_private_base
	s_waitcnt lgkmcnt(0)
	s_bitcmp1_b32 s15, 0
	v_mov_b32_e32 v3, s19
	s_cselect_b32 s6, -1, 0
	v_mov_b32_e32 v4, s18
	s_and_b32 vcc_lo, s6, exec_lo
	s_cselect_b32 s6, 0, s18
	s_cselect_b32 s7, s7, s19
	v_mov_b32_e32 v1, s6
	v_mov_b32_e32 v2, s7
	buffer_store_dword v3, off, s[0:3], 0 offset:4
	buffer_store_dword v4, off, s[0:3], 0
	v_mov_b32_e32 v8, s10
	v_mov_b32_e32 v9, s11
	flat_load_dwordx2 v[1:2], v[1:2]
	s_cbranch_vccnz .LBB45_2
; %bb.1:
	v_mov_b32_e32 v3, s18
	v_mov_b32_e32 v4, s19
	flat_load_dwordx2 v[8:9], v[3:4] offset:8
.LBB45_2:
	v_readfirstlane_b32 s6, v0
	s_lshl_b32 s7, s8, 4
	s_lshr_b32 s15, s6, 6
	s_add_i32 s6, s15, s7
	s_mov_b32 s7, 0
	v_cmp_le_i64_e64 s8, s[16:17], s[6:7]
	s_and_b32 vcc_lo, exec_lo, s8
	s_cbranch_vccnz .LBB45_49
; %bb.3:
	s_clause 0x1
	s_load_dword s8, s[4:5], 0x58
	s_load_dwordx2 s[10:11], s[4:5], 0x50
	s_lshl_b64 s[6:7], s[6:7], 3
	v_mov_b32_e32 v6, 0
	v_mov_b32_e32 v4, 0
	v_and_b32_e32 v15, 63, v0
	v_mov_b32_e32 v7, 0
	v_mov_b32_e32 v5, 0
	s_mov_b32 s18, exec_lo
	s_waitcnt lgkmcnt(0)
	s_ashr_i32 s9, s8, 31
	s_add_u32 s10, s10, s6
	s_addc_u32 s11, s11, s7
	s_lshl_b64 s[6:7], s[8:9], 3
	s_add_u32 s6, s10, s6
	s_addc_u32 s7, s11, s7
	s_load_dwordx2 s[20:21], s[6:7], 0x0
	s_load_dwordx2 s[8:9], s[4:5], 0x18
	s_waitcnt lgkmcnt(0)
	s_lshl_b64 s[6:7], s[20:21], 2
	s_add_u32 s16, s8, s6
	s_addc_u32 s17, s9, s7
	s_load_dwordx4 s[8:11], s[4:5], 0x40
	s_load_dwordx2 s[16:17], s[16:17], 0x0
	v_cmpx_eq_u32_e32 0, v15
	s_cbranch_execz .LBB45_5
; %bb.4:
	s_load_dwordx4 s[24:27], s[4:5], 0x30
	s_waitcnt lgkmcnt(0)
	s_mul_i32 s19, s20, s27
	s_mul_hi_u32 s22, s20, s26
	s_mul_i32 s23, s21, s26
	s_add_i32 s19, s22, s19
	s_mul_i32 s22, s20, s26
	s_add_i32 s23, s19, s23
	s_lshl_b64 s[22:23], s[22:23], 4
	s_add_u32 s22, s24, s22
	s_addc_u32 s23, s25, s23
	s_load_dwordx4 s[24:27], s[22:23], 0x0
	s_waitcnt vmcnt(0) lgkmcnt(0)
	v_mul_f64 v[3:4], s[26:27], -v[8:9]
	v_mul_f64 v[10:11], v[1:2], s[26:27]
	v_fma_f64 v[6:7], v[1:2], s[24:25], v[3:4]
	v_fma_f64 v[4:5], v[8:9], s[24:25], v[10:11]
.LBB45_5:
	s_or_b32 exec_lo, exec_lo, s18
	v_subrev_nc_u32_e32 v0, s12, v15
	s_waitcnt lgkmcnt(0)
	s_sub_i32 s27, s17, s12
	s_mov_b32 s26, exec_lo
	s_waitcnt vmcnt(0)
	v_add_nc_u32_e32 v8, s16, v0
	v_cmpx_gt_i32_e64 s27, v8
	s_cbranch_execz .LBB45_45
; %bb.6:
	s_clause 0x1
	s_load_dwordx2 s[22:23], s[4:5], 0x60
	s_load_dwordx4 s[16:19], s[4:5], 0x20
	s_cmp_eq_u32 s14, 0
	v_mov_b32_e32 v16, 0
	s_cselect_b32 s29, -1, 0
	s_add_u32 s24, s20, s12
	s_mov_b32 s28, 0
	s_addc_u32 s25, s21, 0
	s_lshl_b32 s30, s15, 4
	s_branch .LBB45_8
.LBB45_7:                               ;   in Loop: Header=BB45_8 Depth=1
	s_or_b32 exec_lo, exec_lo, s31
	s_and_b32 s4, exec_lo, s4
	s_or_b32 s28, s4, s28
	s_andn2_b32 exec_lo, exec_lo, s28
	s_cbranch_execz .LBB45_44
.LBB45_8:                               ; =>This Loop Header: Depth=1
                                        ;     Child Loop BB45_33 Depth 2
                                        ;       Child Loop BB45_34 Depth 3
	v_ashrrev_i32_e32 v9, 31, v8
	v_lshlrev_b64 v[0:1], 4, v[8:9]
	v_lshlrev_b64 v[9:10], 3, v[8:9]
	s_waitcnt lgkmcnt(0)
	v_add_co_u32 v0, vcc_lo, s18, v0
	v_add_co_ci_u32_e64 v1, null, s19, v1, vcc_lo
	v_add_co_u32 v9, vcc_lo, s16, v9
	v_add_co_ci_u32_e64 v10, null, s17, v10, vcc_lo
	global_load_dwordx4 v[0:3], v[0:1], off slc
	global_load_dwordx2 v[9:10], v[9:10], off slc
	s_waitcnt vmcnt(1)
	v_cmp_eq_f64_e64 s4, 0, v[0:1]
	v_cmp_eq_f64_e64 s5, 0, v[2:3]
	s_waitcnt vmcnt(0)
	v_sub_co_u32 v9, vcc_lo, v9, s12
	v_subrev_co_ci_u32_e64 v10, null, 0, v10, vcc_lo
	v_cmp_eq_u64_e32 vcc_lo, s[20:21], v[9:10]
	s_and_b32 s5, s4, s5
	v_cmp_ne_u64_e64 s4, s[20:21], v[9:10]
	s_and_b32 s5, s5, vcc_lo
	s_and_b32 s5, s29, s5
	s_and_saveexec_b32 s31, s5
	s_cbranch_execz .LBB45_12
; %bb.9:                                ;   in Loop: Header=BB45_8 Depth=1
	v_mbcnt_lo_u32_b32 v0, exec_lo, 0
	s_mov_b32 s33, exec_lo
	v_cmpx_eq_u32_e32 0, v0
	s_cbranch_execz .LBB45_11
; %bb.10:                               ;   in Loop: Header=BB45_8 Depth=1
	v_mov_b32_e32 v0, s24
	v_mov_b32_e32 v1, s25
	global_atomic_umin_x2 v16, v[0:1], s[22:23]
.LBB45_11:                              ;   in Loop: Header=BB45_8 Depth=1
	s_or_b32 exec_lo, exec_lo, s33
	v_mov_b32_e32 v2, 0
	v_mov_b32_e32 v0, 0
	;; [unrolled: 1-line block ×4, first 2 shown]
.LBB45_12:                              ;   in Loop: Header=BB45_8 Depth=1
	s_or_b32 exec_lo, exec_lo, s31
	s_mov_b32 s5, -1
	s_mov_b32 s31, 0
	s_cmp_lt_i32 s13, 1
	s_mov_b32 s33, 0
	s_cbranch_scc1 .LBB45_22
; %bb.13:                               ;   in Loop: Header=BB45_8 Depth=1
	s_cmp_eq_u32 s13, 1
	s_mov_b32 s33, -1
	s_cbranch_scc0 .LBB45_21
; %bb.14:                               ;   in Loop: Header=BB45_8 Depth=1
	s_mov_b32 s33, 0
	s_mov_b32 s34, exec_lo
	v_cmpx_le_i64_e64 s[20:21], v[9:10]
	s_cbranch_execz .LBB45_20
; %bb.15:                               ;   in Loop: Header=BB45_8 Depth=1
	s_mov_b32 s33, -1
	s_and_saveexec_b32 s5, vcc_lo
	s_xor_b32 s5, exec_lo, s5
	s_cbranch_execz .LBB45_19
; %bb.16:                               ;   in Loop: Header=BB45_8 Depth=1
	s_andn2_b32 vcc_lo, exec_lo, s29
	s_cbranch_vccnz .LBB45_18
; %bb.17:                               ;   in Loop: Header=BB45_8 Depth=1
	v_mul_f64 v[11:12], v[2:3], v[2:3]
	v_fma_f64 v[11:12], v[0:1], v[0:1], v[11:12]
	v_div_scale_f64 v[13:14], null, v[11:12], v[11:12], 1.0
	v_div_scale_f64 v[21:22], vcc_lo, 1.0, v[11:12], 1.0
	v_rcp_f64_e32 v[17:18], v[13:14]
	v_fma_f64 v[19:20], -v[13:14], v[17:18], 1.0
	v_fma_f64 v[17:18], v[17:18], v[19:20], v[17:18]
	v_fma_f64 v[19:20], -v[13:14], v[17:18], 1.0
	v_fma_f64 v[17:18], v[17:18], v[19:20], v[17:18]
	v_mul_f64 v[19:20], v[21:22], v[17:18]
	v_fma_f64 v[13:14], -v[13:14], v[19:20], v[21:22]
	v_div_fmas_f64 v[13:14], v[13:14], v[17:18], v[19:20]
	v_fma_f64 v[17:18], v[2:3], 0, v[0:1]
	v_fma_f64 v[19:20], v[0:1], 0, -v[2:3]
	v_div_fixup_f64 v[13:14], v[13:14], v[11:12], 1.0
	v_mul_f64 v[11:12], v[17:18], v[13:14]
	v_mul_f64 v[13:14], v[19:20], v[13:14]
	v_mov_b32_e32 v17, s30
	ds_write_b128 v17, v[11:14]
.LBB45_18:                              ;   in Loop: Header=BB45_8 Depth=1
	s_xor_b32 s33, exec_lo, -1
.LBB45_19:                              ;   in Loop: Header=BB45_8 Depth=1
	s_or_b32 exec_lo, exec_lo, s5
	s_and_b32 s33, s33, exec_lo
.LBB45_20:                              ;   in Loop: Header=BB45_8 Depth=1
	s_or_b32 exec_lo, exec_lo, s34
.LBB45_21:                              ;   in Loop: Header=BB45_8 Depth=1
	s_mov_b32 s5, 0
.LBB45_22:                              ;   in Loop: Header=BB45_8 Depth=1
	s_and_b32 vcc_lo, exec_lo, s5
	s_mov_b32 s5, 4
	s_cbranch_vccz .LBB45_29
; %bb.23:                               ;   in Loop: Header=BB45_8 Depth=1
	s_cmp_eq_u32 s13, 0
	s_cbranch_scc1 .LBB45_25
; %bb.24:                               ;   in Loop: Header=BB45_8 Depth=1
	s_mov_b32 s33, -1
	s_branch .LBB45_28
.LBB45_25:                              ;   in Loop: Header=BB45_8 Depth=1
	s_mov_b32 s33, 0
	s_mov_b32 s5, exec_lo
	v_cmpx_ge_i64_e64 s[20:21], v[9:10]
; %bb.26:                               ;   in Loop: Header=BB45_8 Depth=1
	s_mov_b32 s31, exec_lo
	s_and_b32 s33, s4, exec_lo
; %bb.27:                               ;   in Loop: Header=BB45_8 Depth=1
	s_or_b32 exec_lo, exec_lo, s5
.LBB45_28:                              ;   in Loop: Header=BB45_8 Depth=1
	s_mov_b32 s5, 2
.LBB45_29:                              ;   in Loop: Header=BB45_8 Depth=1
	v_mov_b32_e32 v14, v5
	v_mov_b32_e32 v12, v7
	;; [unrolled: 1-line block ×5, first 2 shown]
	s_and_saveexec_b32 s4, s33
	s_cbranch_execz .LBB45_36
; %bb.30:                               ;   in Loop: Header=BB45_8 Depth=1
	v_lshlrev_b64 v[11:12], 2, v[9:10]
	s_mov_b32 s5, exec_lo
	v_add_co_u32 v11, vcc_lo, s10, v11
	v_add_co_ci_u32_e64 v12, null, s11, v12, vcc_lo
	global_load_dword v13, v[11:12], off glc dlc
	s_waitcnt vmcnt(0)
	v_cmpx_eq_u32_e32 0, v13
	s_cbranch_execz .LBB45_35
; %bb.31:                               ;   in Loop: Header=BB45_8 Depth=1
	s_mov_b32 s33, 0
	s_mov_b32 s34, 0
	s_branch .LBB45_33
	.p2align	6
.LBB45_32:                              ;   in Loop: Header=BB45_33 Depth=2
	global_load_dword v13, v[11:12], off glc dlc
	s_cmpk_lt_u32 s34, 0xf43
	s_cselect_b32 s35, -1, 0
	s_cmp_lg_u32 s35, 0
	s_addc_u32 s34, s34, 0
	s_waitcnt vmcnt(0)
	v_cmp_ne_u32_e32 vcc_lo, 0, v13
	s_or_b32 s33, vcc_lo, s33
	s_andn2_b32 exec_lo, exec_lo, s33
	s_cbranch_execz .LBB45_35
.LBB45_33:                              ;   Parent Loop BB45_8 Depth=1
                                        ; =>  This Loop Header: Depth=2
                                        ;       Child Loop BB45_34 Depth 3
	s_cmp_eq_u32 s34, 0
	s_mov_b32 s35, s34
	s_cbranch_scc1 .LBB45_32
.LBB45_34:                              ;   Parent Loop BB45_8 Depth=1
                                        ;     Parent Loop BB45_33 Depth=2
                                        ; =>    This Inner Loop Header: Depth=3
	s_add_i32 s35, s35, -1
	s_sleep 1
	s_cmp_eq_u32 s35, 0
	s_cbranch_scc0 .LBB45_34
	s_branch .LBB45_32
.LBB45_35:                              ;   in Loop: Header=BB45_8 Depth=1
	s_or_b32 exec_lo, exec_lo, s5
	v_lshlrev_b64 v[9:10], 4, v[9:10]
	s_waitcnt lgkmcnt(0)
	s_waitcnt_vscnt null, 0x0
	buffer_gl1_inv
	buffer_gl0_inv
	s_andn2_b32 s31, s31, exec_lo
	v_add_co_u32 v9, vcc_lo, s8, v9
	v_add_co_ci_u32_e64 v10, null, s9, v10, vcc_lo
	global_load_dwordx4 v[11:14], v[9:10], off
	s_waitcnt vmcnt(0)
	v_fma_f64 v[9:10], -v[0:1], v[11:12], v[6:7]
	v_fma_f64 v[17:18], -v[2:3], v[11:12], v[4:5]
	v_fma_f64 v[11:12], v[2:3], v[13:14], v[9:10]
	v_fma_f64 v[13:14], -v[0:1], v[13:14], v[17:18]
	v_mov_b32_e32 v17, 0
.LBB45_36:                              ;   in Loop: Header=BB45_8 Depth=1
	s_or_b32 exec_lo, exec_lo, s4
	s_and_saveexec_b32 s4, s31
	s_cbranch_execz .LBB45_40
; %bb.37:                               ;   in Loop: Header=BB45_8 Depth=1
	s_andn2_b32 vcc_lo, exec_lo, s29
	s_cbranch_vccnz .LBB45_39
; %bb.38:                               ;   in Loop: Header=BB45_8 Depth=1
	v_mul_f64 v[9:10], v[2:3], v[2:3]
	v_fma_f64 v[9:10], v[0:1], v[0:1], v[9:10]
	v_div_scale_f64 v[11:12], null, v[9:10], v[9:10], 1.0
	v_div_scale_f64 v[19:20], vcc_lo, 1.0, v[9:10], 1.0
	v_rcp_f64_e32 v[13:14], v[11:12]
	v_fma_f64 v[17:18], -v[11:12], v[13:14], 1.0
	v_fma_f64 v[13:14], v[13:14], v[17:18], v[13:14]
	v_fma_f64 v[17:18], -v[11:12], v[13:14], 1.0
	v_fma_f64 v[13:14], v[13:14], v[17:18], v[13:14]
	v_mul_f64 v[17:18], v[19:20], v[13:14]
	v_fma_f64 v[11:12], -v[11:12], v[17:18], v[19:20]
	v_div_fmas_f64 v[11:12], v[11:12], v[13:14], v[17:18]
	v_fma_f64 v[13:14], v[2:3], 0, v[0:1]
	v_fma_f64 v[2:3], v[0:1], 0, -v[2:3]
	v_div_fixup_f64 v[9:10], v[11:12], v[9:10], 1.0
	v_mul_f64 v[0:1], v[13:14], v[9:10]
	v_mul_f64 v[2:3], v[2:3], v[9:10]
	v_mov_b32_e32 v9, s30
	ds_write_b128 v9, v[0:3]
.LBB45_39:                              ;   in Loop: Header=BB45_8 Depth=1
	v_mov_b32_e32 v12, v7
	v_mov_b32_e32 v14, v5
	;; [unrolled: 1-line block ×5, first 2 shown]
.LBB45_40:                              ;   in Loop: Header=BB45_8 Depth=1
	s_or_b32 exec_lo, exec_lo, s4
	v_mov_b32_e32 v4, v13
	v_mov_b32_e32 v6, v11
	;; [unrolled: 1-line block ×4, first 2 shown]
	s_mov_b32 s4, -1
	s_mov_b32 s5, -1
	s_mov_b32 s31, exec_lo
	v_cmpx_gt_i32_e32 4, v17
; %bb.41:                               ;   in Loop: Header=BB45_8 Depth=1
	v_cmp_eq_u32_e32 vcc_lo, 0, v17
	s_orn2_b32 s5, vcc_lo, exec_lo
; %bb.42:                               ;   in Loop: Header=BB45_8 Depth=1
	s_or_b32 exec_lo, exec_lo, s31
	s_and_saveexec_b32 s31, s5
	s_cbranch_execz .LBB45_7
; %bb.43:                               ;   in Loop: Header=BB45_8 Depth=1
	v_add_nc_u32_e32 v8, 64, v8
	v_cmp_le_i32_e32 vcc_lo, s27, v8
	s_orn2_b32 s4, vcc_lo, exec_lo
	s_branch .LBB45_7
.LBB45_44:
	s_or_b32 exec_lo, exec_lo, s28
.LBB45_45:
	s_or_b32 exec_lo, exec_lo, s26
	v_mbcnt_lo_u32_b32 v8, -1, 0
	s_cmp_lg_u32 s14, 0
	v_or_b32_e32 v0, 32, v8
	v_cmp_gt_i32_e32 vcc_lo, 32, v0
	v_cndmask_b32_e32 v0, v8, v0, vcc_lo
	v_lshlrev_b32_e32 v3, 2, v0
	ds_bpermute_b32 v0, v3, v6
	ds_bpermute_b32 v1, v3, v7
	;; [unrolled: 1-line block ×4, first 2 shown]
	s_waitcnt lgkmcnt(2)
	v_add_f64 v[0:1], v[6:7], v[0:1]
	s_waitcnt lgkmcnt(0)
	v_add_f64 v[2:3], v[4:5], v[2:3]
	v_xor_b32_e32 v4, 16, v8
	v_cmp_gt_i32_e32 vcc_lo, 32, v4
	v_cndmask_b32_e32 v4, v8, v4, vcc_lo
	v_lshlrev_b32_e32 v7, 2, v4
	ds_bpermute_b32 v4, v7, v0
	ds_bpermute_b32 v5, v7, v1
	ds_bpermute_b32 v6, v7, v2
	ds_bpermute_b32 v7, v7, v3
	s_waitcnt lgkmcnt(2)
	v_add_f64 v[0:1], v[0:1], v[4:5]
	v_xor_b32_e32 v4, 8, v8
	s_waitcnt lgkmcnt(0)
	v_add_f64 v[2:3], v[2:3], v[6:7]
	v_cmp_gt_i32_e32 vcc_lo, 32, v4
	v_cndmask_b32_e32 v4, v8, v4, vcc_lo
	v_lshlrev_b32_e32 v7, 2, v4
	ds_bpermute_b32 v4, v7, v0
	ds_bpermute_b32 v5, v7, v1
	ds_bpermute_b32 v6, v7, v2
	ds_bpermute_b32 v7, v7, v3
	s_waitcnt lgkmcnt(2)
	v_add_f64 v[0:1], v[0:1], v[4:5]
	v_xor_b32_e32 v4, 4, v8
	s_waitcnt lgkmcnt(0)
	v_add_f64 v[2:3], v[2:3], v[6:7]
	;; [unrolled: 12-line block ×4, first 2 shown]
	v_cmp_gt_i32_e32 vcc_lo, 32, v4
	v_cndmask_b32_e32 v4, v8, v4, vcc_lo
	v_lshlrev_b32_e32 v7, 2, v4
	ds_bpermute_b32 v4, v7, v0
	ds_bpermute_b32 v5, v7, v1
	;; [unrolled: 1-line block ×4, first 2 shown]
	s_waitcnt lgkmcnt(2)
	v_add_f64 v[0:1], v[0:1], v[4:5]
	s_waitcnt lgkmcnt(0)
	v_add_f64 v[2:3], v[2:3], v[6:7]
	s_cbranch_scc1 .LBB45_47
; %bb.46:
	s_lshl_b32 s4, s15, 4
	s_waitcnt_vscnt null, 0x0
	buffer_gl0_inv
	v_mov_b32_e32 v4, s4
	ds_read_b128 v[4:7], v4
	s_waitcnt lgkmcnt(0)
	v_mul_f64 v[8:9], v[6:7], -v[2:3]
	v_mul_f64 v[6:7], v[0:1], v[6:7]
	v_fma_f64 v[0:1], v[0:1], v[4:5], v[8:9]
	v_fma_f64 v[2:3], v[2:3], v[4:5], v[6:7]
.LBB45_47:
	s_mov_b32 s4, exec_lo
	v_cmpx_eq_u32_e32 63, v15
	s_cbranch_execz .LBB45_49
; %bb.48:
	s_lshl_b64 s[4:5], s[20:21], 4
	v_mov_b32_e32 v4, 0
	s_add_u32 s4, s8, s4
	v_mov_b32_e32 v5, 1
	s_addc_u32 s5, s9, s5
	s_add_u32 s6, s10, s6
	s_addc_u32 s7, s11, s7
	global_store_dwordx4 v4, v[0:3], s[4:5] glc slc
	s_waitcnt_vscnt null, 0x0
	global_store_dword v4, v5, s[6:7]
.LBB45_49:
	s_endpgm
	.section	.rodata,"a",@progbits
	.p2align	6, 0x0
	.amdhsa_kernel _ZN9rocsparseL12csrsv_kernelILj1024ELj64ELb1Eil21rocsparse_complex_numIdEEEvT3_NS_24const_host_device_scalarIT4_EEPKT2_PKS3_PKS5_SD_lPS5_PiSB_iPS3_21rocsparse_index_base_20rocsparse_fill_mode_20rocsparse_diag_type_b
		.amdhsa_group_segment_fixed_size 256
		.amdhsa_private_segment_fixed_size 16
		.amdhsa_kernarg_size 120
		.amdhsa_user_sgpr_count 8
		.amdhsa_user_sgpr_private_segment_buffer 1
		.amdhsa_user_sgpr_dispatch_ptr 0
		.amdhsa_user_sgpr_queue_ptr 0
		.amdhsa_user_sgpr_kernarg_segment_ptr 1
		.amdhsa_user_sgpr_dispatch_id 0
		.amdhsa_user_sgpr_flat_scratch_init 1
		.amdhsa_user_sgpr_private_segment_size 0
		.amdhsa_wavefront_size32 1
		.amdhsa_uses_dynamic_stack 0
		.amdhsa_system_sgpr_private_segment_wavefront_offset 1
		.amdhsa_system_sgpr_workgroup_id_x 1
		.amdhsa_system_sgpr_workgroup_id_y 0
		.amdhsa_system_sgpr_workgroup_id_z 0
		.amdhsa_system_sgpr_workgroup_info 0
		.amdhsa_system_vgpr_workitem_id 0
		.amdhsa_next_free_vgpr 23
		.amdhsa_next_free_sgpr 36
		.amdhsa_reserve_vcc 1
		.amdhsa_reserve_flat_scratch 1
		.amdhsa_float_round_mode_32 0
		.amdhsa_float_round_mode_16_64 0
		.amdhsa_float_denorm_mode_32 3
		.amdhsa_float_denorm_mode_16_64 3
		.amdhsa_dx10_clamp 1
		.amdhsa_ieee_mode 1
		.amdhsa_fp16_overflow 0
		.amdhsa_workgroup_processor_mode 1
		.amdhsa_memory_ordered 1
		.amdhsa_forward_progress 1
		.amdhsa_shared_vgpr_count 0
		.amdhsa_exception_fp_ieee_invalid_op 0
		.amdhsa_exception_fp_denorm_src 0
		.amdhsa_exception_fp_ieee_div_zero 0
		.amdhsa_exception_fp_ieee_overflow 0
		.amdhsa_exception_fp_ieee_underflow 0
		.amdhsa_exception_fp_ieee_inexact 0
		.amdhsa_exception_int_div_zero 0
	.end_amdhsa_kernel
	.section	.text._ZN9rocsparseL12csrsv_kernelILj1024ELj64ELb1Eil21rocsparse_complex_numIdEEEvT3_NS_24const_host_device_scalarIT4_EEPKT2_PKS3_PKS5_SD_lPS5_PiSB_iPS3_21rocsparse_index_base_20rocsparse_fill_mode_20rocsparse_diag_type_b,"axG",@progbits,_ZN9rocsparseL12csrsv_kernelILj1024ELj64ELb1Eil21rocsparse_complex_numIdEEEvT3_NS_24const_host_device_scalarIT4_EEPKT2_PKS3_PKS5_SD_lPS5_PiSB_iPS3_21rocsparse_index_base_20rocsparse_fill_mode_20rocsparse_diag_type_b,comdat
.Lfunc_end45:
	.size	_ZN9rocsparseL12csrsv_kernelILj1024ELj64ELb1Eil21rocsparse_complex_numIdEEEvT3_NS_24const_host_device_scalarIT4_EEPKT2_PKS3_PKS5_SD_lPS5_PiSB_iPS3_21rocsparse_index_base_20rocsparse_fill_mode_20rocsparse_diag_type_b, .Lfunc_end45-_ZN9rocsparseL12csrsv_kernelILj1024ELj64ELb1Eil21rocsparse_complex_numIdEEEvT3_NS_24const_host_device_scalarIT4_EEPKT2_PKS3_PKS5_SD_lPS5_PiSB_iPS3_21rocsparse_index_base_20rocsparse_fill_mode_20rocsparse_diag_type_b
                                        ; -- End function
	.set _ZN9rocsparseL12csrsv_kernelILj1024ELj64ELb1Eil21rocsparse_complex_numIdEEEvT3_NS_24const_host_device_scalarIT4_EEPKT2_PKS3_PKS5_SD_lPS5_PiSB_iPS3_21rocsparse_index_base_20rocsparse_fill_mode_20rocsparse_diag_type_b.num_vgpr, 23
	.set _ZN9rocsparseL12csrsv_kernelILj1024ELj64ELb1Eil21rocsparse_complex_numIdEEEvT3_NS_24const_host_device_scalarIT4_EEPKT2_PKS3_PKS5_SD_lPS5_PiSB_iPS3_21rocsparse_index_base_20rocsparse_fill_mode_20rocsparse_diag_type_b.num_agpr, 0
	.set _ZN9rocsparseL12csrsv_kernelILj1024ELj64ELb1Eil21rocsparse_complex_numIdEEEvT3_NS_24const_host_device_scalarIT4_EEPKT2_PKS3_PKS5_SD_lPS5_PiSB_iPS3_21rocsparse_index_base_20rocsparse_fill_mode_20rocsparse_diag_type_b.numbered_sgpr, 36
	.set _ZN9rocsparseL12csrsv_kernelILj1024ELj64ELb1Eil21rocsparse_complex_numIdEEEvT3_NS_24const_host_device_scalarIT4_EEPKT2_PKS3_PKS5_SD_lPS5_PiSB_iPS3_21rocsparse_index_base_20rocsparse_fill_mode_20rocsparse_diag_type_b.num_named_barrier, 0
	.set _ZN9rocsparseL12csrsv_kernelILj1024ELj64ELb1Eil21rocsparse_complex_numIdEEEvT3_NS_24const_host_device_scalarIT4_EEPKT2_PKS3_PKS5_SD_lPS5_PiSB_iPS3_21rocsparse_index_base_20rocsparse_fill_mode_20rocsparse_diag_type_b.private_seg_size, 16
	.set _ZN9rocsparseL12csrsv_kernelILj1024ELj64ELb1Eil21rocsparse_complex_numIdEEEvT3_NS_24const_host_device_scalarIT4_EEPKT2_PKS3_PKS5_SD_lPS5_PiSB_iPS3_21rocsparse_index_base_20rocsparse_fill_mode_20rocsparse_diag_type_b.uses_vcc, 1
	.set _ZN9rocsparseL12csrsv_kernelILj1024ELj64ELb1Eil21rocsparse_complex_numIdEEEvT3_NS_24const_host_device_scalarIT4_EEPKT2_PKS3_PKS5_SD_lPS5_PiSB_iPS3_21rocsparse_index_base_20rocsparse_fill_mode_20rocsparse_diag_type_b.uses_flat_scratch, 1
	.set _ZN9rocsparseL12csrsv_kernelILj1024ELj64ELb1Eil21rocsparse_complex_numIdEEEvT3_NS_24const_host_device_scalarIT4_EEPKT2_PKS3_PKS5_SD_lPS5_PiSB_iPS3_21rocsparse_index_base_20rocsparse_fill_mode_20rocsparse_diag_type_b.has_dyn_sized_stack, 0
	.set _ZN9rocsparseL12csrsv_kernelILj1024ELj64ELb1Eil21rocsparse_complex_numIdEEEvT3_NS_24const_host_device_scalarIT4_EEPKT2_PKS3_PKS5_SD_lPS5_PiSB_iPS3_21rocsparse_index_base_20rocsparse_fill_mode_20rocsparse_diag_type_b.has_recursion, 0
	.set _ZN9rocsparseL12csrsv_kernelILj1024ELj64ELb1Eil21rocsparse_complex_numIdEEEvT3_NS_24const_host_device_scalarIT4_EEPKT2_PKS3_PKS5_SD_lPS5_PiSB_iPS3_21rocsparse_index_base_20rocsparse_fill_mode_20rocsparse_diag_type_b.has_indirect_call, 0
	.section	.AMDGPU.csdata,"",@progbits
; Kernel info:
; codeLenInByte = 2172
; TotalNumSgprs: 38
; NumVgprs: 23
; ScratchSize: 16
; MemoryBound: 0
; FloatMode: 240
; IeeeMode: 1
; LDSByteSize: 256 bytes/workgroup (compile time only)
; SGPRBlocks: 0
; VGPRBlocks: 2
; NumSGPRsForWavesPerEU: 38
; NumVGPRsForWavesPerEU: 23
; Occupancy: 16
; WaveLimiterHint : 1
; COMPUTE_PGM_RSRC2:SCRATCH_EN: 1
; COMPUTE_PGM_RSRC2:USER_SGPR: 8
; COMPUTE_PGM_RSRC2:TRAP_HANDLER: 0
; COMPUTE_PGM_RSRC2:TGID_X_EN: 1
; COMPUTE_PGM_RSRC2:TGID_Y_EN: 0
; COMPUTE_PGM_RSRC2:TGID_Z_EN: 0
; COMPUTE_PGM_RSRC2:TIDIG_COMP_CNT: 0
	.section	.text._ZN9rocsparseL12csrsv_kernelILj1024ELj32ELb0Eil21rocsparse_complex_numIdEEEvT3_NS_24const_host_device_scalarIT4_EEPKT2_PKS3_PKS5_SD_lPS5_PiSB_iPS3_21rocsparse_index_base_20rocsparse_fill_mode_20rocsparse_diag_type_b,"axG",@progbits,_ZN9rocsparseL12csrsv_kernelILj1024ELj32ELb0Eil21rocsparse_complex_numIdEEEvT3_NS_24const_host_device_scalarIT4_EEPKT2_PKS3_PKS5_SD_lPS5_PiSB_iPS3_21rocsparse_index_base_20rocsparse_fill_mode_20rocsparse_diag_type_b,comdat
	.globl	_ZN9rocsparseL12csrsv_kernelILj1024ELj32ELb0Eil21rocsparse_complex_numIdEEEvT3_NS_24const_host_device_scalarIT4_EEPKT2_PKS3_PKS5_SD_lPS5_PiSB_iPS3_21rocsparse_index_base_20rocsparse_fill_mode_20rocsparse_diag_type_b ; -- Begin function _ZN9rocsparseL12csrsv_kernelILj1024ELj32ELb0Eil21rocsparse_complex_numIdEEEvT3_NS_24const_host_device_scalarIT4_EEPKT2_PKS3_PKS5_SD_lPS5_PiSB_iPS3_21rocsparse_index_base_20rocsparse_fill_mode_20rocsparse_diag_type_b
	.p2align	8
	.type	_ZN9rocsparseL12csrsv_kernelILj1024ELj32ELb0Eil21rocsparse_complex_numIdEEEvT3_NS_24const_host_device_scalarIT4_EEPKT2_PKS3_PKS5_SD_lPS5_PiSB_iPS3_21rocsparse_index_base_20rocsparse_fill_mode_20rocsparse_diag_type_b,@function
_ZN9rocsparseL12csrsv_kernelILj1024ELj32ELb0Eil21rocsparse_complex_numIdEEEvT3_NS_24const_host_device_scalarIT4_EEPKT2_PKS3_PKS5_SD_lPS5_PiSB_iPS3_21rocsparse_index_base_20rocsparse_fill_mode_20rocsparse_diag_type_b: ; @_ZN9rocsparseL12csrsv_kernelILj1024ELj32ELb0Eil21rocsparse_complex_numIdEEEvT3_NS_24const_host_device_scalarIT4_EEPKT2_PKS3_PKS5_SD_lPS5_PiSB_iPS3_21rocsparse_index_base_20rocsparse_fill_mode_20rocsparse_diag_type_b
; %bb.0:
	s_add_u32 s6, s6, s9
	s_addc_u32 s7, s7, 0
	s_setreg_b32 hwreg(HW_REG_FLAT_SCR_LO), s6
	s_setreg_b32 hwreg(HW_REG_FLAT_SCR_HI), s7
	s_clause 0x2
	s_load_dwordx4 s[12:15], s[4:5], 0x68
	s_load_dwordx4 s[16:19], s[4:5], 0x0
	s_load_dwordx2 s[10:11], s[4:5], 0x10
	s_add_u32 s0, s0, s9
	s_addc_u32 s1, s1, 0
	s_mov_b64 s[6:7], src_private_base
	s_waitcnt lgkmcnt(0)
	s_bitcmp1_b32 s15, 0
	v_mov_b32_e32 v3, s19
	s_cselect_b32 s6, -1, 0
	v_mov_b32_e32 v4, s18
	s_and_b32 vcc_lo, s6, exec_lo
	s_cselect_b32 s6, 0, s18
	s_cselect_b32 s7, s7, s19
	v_mov_b32_e32 v1, s6
	v_mov_b32_e32 v2, s7
	buffer_store_dword v3, off, s[0:3], 0 offset:4
	buffer_store_dword v4, off, s[0:3], 0
	v_mov_b32_e32 v8, s10
	v_mov_b32_e32 v9, s11
	flat_load_dwordx2 v[1:2], v[1:2]
	s_cbranch_vccnz .LBB46_2
; %bb.1:
	v_mov_b32_e32 v3, s18
	v_mov_b32_e32 v4, s19
	flat_load_dwordx2 v[8:9], v[3:4] offset:8
.LBB46_2:
	v_readfirstlane_b32 s6, v0
	s_lshl_b32 s7, s8, 5
	s_lshr_b32 s15, s6, 5
	s_add_i32 s6, s15, s7
	s_mov_b32 s7, 0
	v_cmp_le_i64_e64 s8, s[16:17], s[6:7]
	s_and_b32 vcc_lo, exec_lo, s8
	s_cbranch_vccnz .LBB46_47
; %bb.3:
	s_clause 0x1
	s_load_dword s8, s[4:5], 0x58
	s_load_dwordx2 s[10:11], s[4:5], 0x50
	s_lshl_b64 s[6:7], s[6:7], 3
	v_mov_b32_e32 v6, 0
	v_mov_b32_e32 v4, 0
	v_and_b32_e32 v15, 31, v0
	v_mov_b32_e32 v7, 0
	v_mov_b32_e32 v5, 0
	s_mov_b32 s18, exec_lo
	s_waitcnt lgkmcnt(0)
	s_ashr_i32 s9, s8, 31
	s_add_u32 s10, s10, s6
	s_addc_u32 s11, s11, s7
	s_lshl_b64 s[6:7], s[8:9], 3
	s_add_u32 s6, s10, s6
	s_addc_u32 s7, s11, s7
	s_load_dwordx2 s[20:21], s[6:7], 0x0
	s_load_dwordx2 s[8:9], s[4:5], 0x18
	s_waitcnt lgkmcnt(0)
	s_lshl_b64 s[6:7], s[20:21], 2
	s_add_u32 s16, s8, s6
	s_addc_u32 s17, s9, s7
	s_load_dwordx4 s[8:11], s[4:5], 0x40
	s_load_dwordx2 s[16:17], s[16:17], 0x0
	v_cmpx_eq_u32_e32 0, v15
	s_cbranch_execz .LBB46_5
; %bb.4:
	s_load_dwordx4 s[24:27], s[4:5], 0x30
	s_waitcnt lgkmcnt(0)
	s_mul_i32 s19, s20, s27
	s_mul_hi_u32 s22, s20, s26
	s_mul_i32 s23, s21, s26
	s_add_i32 s19, s22, s19
	s_mul_i32 s22, s20, s26
	s_add_i32 s23, s19, s23
	s_lshl_b64 s[22:23], s[22:23], 4
	s_add_u32 s22, s24, s22
	s_addc_u32 s23, s25, s23
	s_load_dwordx4 s[24:27], s[22:23], 0x0
	s_waitcnt vmcnt(0) lgkmcnt(0)
	v_mul_f64 v[3:4], s[26:27], -v[8:9]
	v_mul_f64 v[10:11], v[1:2], s[26:27]
	v_fma_f64 v[6:7], v[1:2], s[24:25], v[3:4]
	v_fma_f64 v[4:5], v[8:9], s[24:25], v[10:11]
.LBB46_5:
	s_or_b32 exec_lo, exec_lo, s18
	v_subrev_nc_u32_e32 v0, s12, v15
	s_waitcnt lgkmcnt(0)
	s_sub_i32 s27, s17, s12
	s_mov_b32 s26, exec_lo
	s_waitcnt vmcnt(0)
	v_add_nc_u32_e32 v8, s16, v0
	v_cmpx_gt_i32_e64 s27, v8
	s_cbranch_execz .LBB46_43
; %bb.6:
	s_clause 0x1
	s_load_dwordx2 s[22:23], s[4:5], 0x60
	s_load_dwordx4 s[16:19], s[4:5], 0x20
	s_cmp_eq_u32 s14, 0
	v_mov_b32_e32 v16, 0
	s_cselect_b32 s29, -1, 0
	s_add_u32 s24, s20, s12
	s_mov_b32 s28, 0
	s_addc_u32 s25, s21, 0
	s_lshl_b32 s30, s15, 4
	s_branch .LBB46_8
.LBB46_7:                               ;   in Loop: Header=BB46_8 Depth=1
	s_or_b32 exec_lo, exec_lo, s31
	s_and_b32 s4, exec_lo, s4
	s_or_b32 s28, s4, s28
	s_andn2_b32 exec_lo, exec_lo, s28
	s_cbranch_execz .LBB46_42
.LBB46_8:                               ; =>This Loop Header: Depth=1
                                        ;     Child Loop BB46_32 Depth 2
	v_ashrrev_i32_e32 v9, 31, v8
	v_lshlrev_b64 v[0:1], 4, v[8:9]
	v_lshlrev_b64 v[9:10], 3, v[8:9]
	s_waitcnt lgkmcnt(0)
	v_add_co_u32 v0, vcc_lo, s18, v0
	v_add_co_ci_u32_e64 v1, null, s19, v1, vcc_lo
	v_add_co_u32 v9, vcc_lo, s16, v9
	v_add_co_ci_u32_e64 v10, null, s17, v10, vcc_lo
	global_load_dwordx4 v[0:3], v[0:1], off slc
	global_load_dwordx2 v[9:10], v[9:10], off slc
	s_waitcnt vmcnt(1)
	v_cmp_eq_f64_e64 s4, 0, v[0:1]
	v_cmp_eq_f64_e64 s5, 0, v[2:3]
	s_waitcnt vmcnt(0)
	v_sub_co_u32 v9, vcc_lo, v9, s12
	v_subrev_co_ci_u32_e64 v10, null, 0, v10, vcc_lo
	v_cmp_eq_u64_e32 vcc_lo, s[20:21], v[9:10]
	s_and_b32 s5, s4, s5
	v_cmp_ne_u64_e64 s4, s[20:21], v[9:10]
	s_and_b32 s5, s5, vcc_lo
	s_and_b32 s5, s29, s5
	s_and_saveexec_b32 s31, s5
	s_cbranch_execz .LBB46_12
; %bb.9:                                ;   in Loop: Header=BB46_8 Depth=1
	v_mbcnt_lo_u32_b32 v0, exec_lo, 0
	s_mov_b32 s33, exec_lo
	v_cmpx_eq_u32_e32 0, v0
	s_cbranch_execz .LBB46_11
; %bb.10:                               ;   in Loop: Header=BB46_8 Depth=1
	v_mov_b32_e32 v0, s24
	v_mov_b32_e32 v1, s25
	global_atomic_umin_x2 v16, v[0:1], s[22:23]
.LBB46_11:                              ;   in Loop: Header=BB46_8 Depth=1
	s_or_b32 exec_lo, exec_lo, s33
	v_mov_b32_e32 v2, 0
	v_mov_b32_e32 v0, 0
	;; [unrolled: 1-line block ×4, first 2 shown]
.LBB46_12:                              ;   in Loop: Header=BB46_8 Depth=1
	s_or_b32 exec_lo, exec_lo, s31
	s_mov_b32 s5, -1
	s_mov_b32 s31, 0
	s_cmp_lt_i32 s13, 1
	s_mov_b32 s33, 0
	s_cbranch_scc1 .LBB46_22
; %bb.13:                               ;   in Loop: Header=BB46_8 Depth=1
	s_cmp_eq_u32 s13, 1
	s_mov_b32 s33, -1
	s_cbranch_scc0 .LBB46_21
; %bb.14:                               ;   in Loop: Header=BB46_8 Depth=1
	s_mov_b32 s33, 0
	s_mov_b32 s34, exec_lo
	v_cmpx_le_i64_e64 s[20:21], v[9:10]
	s_cbranch_execz .LBB46_20
; %bb.15:                               ;   in Loop: Header=BB46_8 Depth=1
	s_mov_b32 s33, -1
	s_and_saveexec_b32 s5, vcc_lo
	s_xor_b32 s5, exec_lo, s5
	s_cbranch_execz .LBB46_19
; %bb.16:                               ;   in Loop: Header=BB46_8 Depth=1
	s_andn2_b32 vcc_lo, exec_lo, s29
	s_cbranch_vccnz .LBB46_18
; %bb.17:                               ;   in Loop: Header=BB46_8 Depth=1
	v_mul_f64 v[11:12], v[2:3], v[2:3]
	v_fma_f64 v[11:12], v[0:1], v[0:1], v[11:12]
	v_div_scale_f64 v[13:14], null, v[11:12], v[11:12], 1.0
	v_div_scale_f64 v[21:22], vcc_lo, 1.0, v[11:12], 1.0
	v_rcp_f64_e32 v[17:18], v[13:14]
	v_fma_f64 v[19:20], -v[13:14], v[17:18], 1.0
	v_fma_f64 v[17:18], v[17:18], v[19:20], v[17:18]
	v_fma_f64 v[19:20], -v[13:14], v[17:18], 1.0
	v_fma_f64 v[17:18], v[17:18], v[19:20], v[17:18]
	v_mul_f64 v[19:20], v[21:22], v[17:18]
	v_fma_f64 v[13:14], -v[13:14], v[19:20], v[21:22]
	v_div_fmas_f64 v[13:14], v[13:14], v[17:18], v[19:20]
	v_fma_f64 v[17:18], v[2:3], 0, v[0:1]
	v_fma_f64 v[19:20], v[0:1], 0, -v[2:3]
	v_div_fixup_f64 v[13:14], v[13:14], v[11:12], 1.0
	v_mul_f64 v[11:12], v[17:18], v[13:14]
	v_mul_f64 v[13:14], v[19:20], v[13:14]
	v_mov_b32_e32 v17, s30
	ds_write_b128 v17, v[11:14]
.LBB46_18:                              ;   in Loop: Header=BB46_8 Depth=1
	s_xor_b32 s33, exec_lo, -1
.LBB46_19:                              ;   in Loop: Header=BB46_8 Depth=1
	s_or_b32 exec_lo, exec_lo, s5
	s_and_b32 s33, s33, exec_lo
.LBB46_20:                              ;   in Loop: Header=BB46_8 Depth=1
	s_or_b32 exec_lo, exec_lo, s34
.LBB46_21:                              ;   in Loop: Header=BB46_8 Depth=1
	s_mov_b32 s5, 0
.LBB46_22:                              ;   in Loop: Header=BB46_8 Depth=1
	s_and_b32 vcc_lo, exec_lo, s5
	s_mov_b32 s5, 4
	s_cbranch_vccz .LBB46_29
; %bb.23:                               ;   in Loop: Header=BB46_8 Depth=1
	s_cmp_eq_u32 s13, 0
	s_cbranch_scc1 .LBB46_25
; %bb.24:                               ;   in Loop: Header=BB46_8 Depth=1
	s_mov_b32 s33, -1
	s_branch .LBB46_28
.LBB46_25:                              ;   in Loop: Header=BB46_8 Depth=1
	s_mov_b32 s33, 0
	s_mov_b32 s5, exec_lo
	v_cmpx_ge_i64_e64 s[20:21], v[9:10]
; %bb.26:                               ;   in Loop: Header=BB46_8 Depth=1
	s_mov_b32 s31, exec_lo
	s_and_b32 s33, s4, exec_lo
; %bb.27:                               ;   in Loop: Header=BB46_8 Depth=1
	s_or_b32 exec_lo, exec_lo, s5
.LBB46_28:                              ;   in Loop: Header=BB46_8 Depth=1
	s_mov_b32 s5, 2
.LBB46_29:                              ;   in Loop: Header=BB46_8 Depth=1
	v_mov_b32_e32 v14, v5
	v_mov_b32_e32 v12, v7
	;; [unrolled: 1-line block ×5, first 2 shown]
	s_and_saveexec_b32 s4, s33
	s_cbranch_execz .LBB46_34
; %bb.30:                               ;   in Loop: Header=BB46_8 Depth=1
	v_lshlrev_b64 v[11:12], 2, v[9:10]
	s_mov_b32 s5, exec_lo
	v_add_co_u32 v11, vcc_lo, s10, v11
	v_add_co_ci_u32_e64 v12, null, s11, v12, vcc_lo
	global_load_dword v13, v[11:12], off glc dlc
	s_waitcnt vmcnt(0)
	v_cmpx_eq_u32_e32 0, v13
	s_cbranch_execz .LBB46_33
; %bb.31:                               ;   in Loop: Header=BB46_8 Depth=1
	s_mov_b32 s33, 0
.LBB46_32:                              ;   Parent Loop BB46_8 Depth=1
                                        ; =>  This Inner Loop Header: Depth=2
	global_load_dword v13, v[11:12], off glc dlc
	s_waitcnt vmcnt(0)
	v_cmp_ne_u32_e32 vcc_lo, 0, v13
	s_or_b32 s33, vcc_lo, s33
	s_andn2_b32 exec_lo, exec_lo, s33
	s_cbranch_execnz .LBB46_32
.LBB46_33:                              ;   in Loop: Header=BB46_8 Depth=1
	s_or_b32 exec_lo, exec_lo, s5
	v_lshlrev_b64 v[9:10], 4, v[9:10]
	s_waitcnt lgkmcnt(0)
	s_waitcnt_vscnt null, 0x0
	buffer_gl1_inv
	buffer_gl0_inv
	s_andn2_b32 s31, s31, exec_lo
	v_add_co_u32 v9, vcc_lo, s8, v9
	v_add_co_ci_u32_e64 v10, null, s9, v10, vcc_lo
	global_load_dwordx4 v[11:14], v[9:10], off
	s_waitcnt vmcnt(0)
	v_fma_f64 v[9:10], -v[0:1], v[11:12], v[6:7]
	v_fma_f64 v[17:18], -v[2:3], v[11:12], v[4:5]
	v_fma_f64 v[11:12], v[2:3], v[13:14], v[9:10]
	v_fma_f64 v[13:14], -v[0:1], v[13:14], v[17:18]
	v_mov_b32_e32 v17, 0
.LBB46_34:                              ;   in Loop: Header=BB46_8 Depth=1
	s_or_b32 exec_lo, exec_lo, s4
	s_and_saveexec_b32 s4, s31
	s_cbranch_execz .LBB46_38
; %bb.35:                               ;   in Loop: Header=BB46_8 Depth=1
	s_andn2_b32 vcc_lo, exec_lo, s29
	s_cbranch_vccnz .LBB46_37
; %bb.36:                               ;   in Loop: Header=BB46_8 Depth=1
	v_mul_f64 v[9:10], v[2:3], v[2:3]
	v_fma_f64 v[9:10], v[0:1], v[0:1], v[9:10]
	v_div_scale_f64 v[11:12], null, v[9:10], v[9:10], 1.0
	v_div_scale_f64 v[19:20], vcc_lo, 1.0, v[9:10], 1.0
	v_rcp_f64_e32 v[13:14], v[11:12]
	v_fma_f64 v[17:18], -v[11:12], v[13:14], 1.0
	v_fma_f64 v[13:14], v[13:14], v[17:18], v[13:14]
	v_fma_f64 v[17:18], -v[11:12], v[13:14], 1.0
	v_fma_f64 v[13:14], v[13:14], v[17:18], v[13:14]
	v_mul_f64 v[17:18], v[19:20], v[13:14]
	v_fma_f64 v[11:12], -v[11:12], v[17:18], v[19:20]
	v_div_fmas_f64 v[11:12], v[11:12], v[13:14], v[17:18]
	v_fma_f64 v[13:14], v[2:3], 0, v[0:1]
	v_fma_f64 v[2:3], v[0:1], 0, -v[2:3]
	v_div_fixup_f64 v[9:10], v[11:12], v[9:10], 1.0
	v_mul_f64 v[0:1], v[13:14], v[9:10]
	v_mul_f64 v[2:3], v[2:3], v[9:10]
	v_mov_b32_e32 v9, s30
	ds_write_b128 v9, v[0:3]
.LBB46_37:                              ;   in Loop: Header=BB46_8 Depth=1
	v_mov_b32_e32 v12, v7
	v_mov_b32_e32 v14, v5
	;; [unrolled: 1-line block ×5, first 2 shown]
.LBB46_38:                              ;   in Loop: Header=BB46_8 Depth=1
	s_or_b32 exec_lo, exec_lo, s4
	v_mov_b32_e32 v4, v13
	v_mov_b32_e32 v6, v11
	;; [unrolled: 1-line block ×4, first 2 shown]
	s_mov_b32 s4, -1
	s_mov_b32 s5, -1
	s_mov_b32 s31, exec_lo
	v_cmpx_gt_i32_e32 4, v17
; %bb.39:                               ;   in Loop: Header=BB46_8 Depth=1
	v_cmp_eq_u32_e32 vcc_lo, 0, v17
	s_orn2_b32 s5, vcc_lo, exec_lo
; %bb.40:                               ;   in Loop: Header=BB46_8 Depth=1
	s_or_b32 exec_lo, exec_lo, s31
	s_and_saveexec_b32 s31, s5
	s_cbranch_execz .LBB46_7
; %bb.41:                               ;   in Loop: Header=BB46_8 Depth=1
	v_add_nc_u32_e32 v8, 32, v8
	v_cmp_le_i32_e32 vcc_lo, s27, v8
	s_orn2_b32 s4, vcc_lo, exec_lo
	s_branch .LBB46_7
.LBB46_42:
	s_or_b32 exec_lo, exec_lo, s28
.LBB46_43:
	s_or_b32 exec_lo, exec_lo, s26
	v_mbcnt_lo_u32_b32 v8, -1, 0
	s_cmp_lg_u32 s14, 0
	v_xor_b32_e32 v0, 16, v8
	v_cmp_gt_i32_e32 vcc_lo, 32, v0
	v_cndmask_b32_e32 v0, v8, v0, vcc_lo
	v_lshlrev_b32_e32 v3, 2, v0
	ds_bpermute_b32 v0, v3, v6
	ds_bpermute_b32 v1, v3, v7
	;; [unrolled: 1-line block ×4, first 2 shown]
	s_waitcnt lgkmcnt(2)
	v_add_f64 v[0:1], v[6:7], v[0:1]
	s_waitcnt lgkmcnt(0)
	v_add_f64 v[2:3], v[4:5], v[2:3]
	v_xor_b32_e32 v4, 8, v8
	v_cmp_gt_i32_e32 vcc_lo, 32, v4
	v_cndmask_b32_e32 v4, v8, v4, vcc_lo
	v_lshlrev_b32_e32 v7, 2, v4
	ds_bpermute_b32 v4, v7, v0
	ds_bpermute_b32 v5, v7, v1
	ds_bpermute_b32 v6, v7, v2
	ds_bpermute_b32 v7, v7, v3
	s_waitcnt lgkmcnt(2)
	v_add_f64 v[0:1], v[0:1], v[4:5]
	v_xor_b32_e32 v4, 4, v8
	s_waitcnt lgkmcnt(0)
	v_add_f64 v[2:3], v[2:3], v[6:7]
	v_cmp_gt_i32_e32 vcc_lo, 32, v4
	v_cndmask_b32_e32 v4, v8, v4, vcc_lo
	v_lshlrev_b32_e32 v7, 2, v4
	ds_bpermute_b32 v4, v7, v0
	ds_bpermute_b32 v5, v7, v1
	ds_bpermute_b32 v6, v7, v2
	ds_bpermute_b32 v7, v7, v3
	s_waitcnt lgkmcnt(2)
	v_add_f64 v[0:1], v[0:1], v[4:5]
	v_xor_b32_e32 v4, 2, v8
	s_waitcnt lgkmcnt(0)
	v_add_f64 v[2:3], v[2:3], v[6:7]
	;; [unrolled: 12-line block ×3, first 2 shown]
	v_cmp_gt_i32_e32 vcc_lo, 32, v4
	v_cndmask_b32_e32 v4, v8, v4, vcc_lo
	v_lshlrev_b32_e32 v7, 2, v4
	ds_bpermute_b32 v4, v7, v0
	ds_bpermute_b32 v5, v7, v1
	;; [unrolled: 1-line block ×4, first 2 shown]
	s_waitcnt lgkmcnt(2)
	v_add_f64 v[0:1], v[0:1], v[4:5]
	s_waitcnt lgkmcnt(0)
	v_add_f64 v[2:3], v[2:3], v[6:7]
	s_cbranch_scc1 .LBB46_45
; %bb.44:
	s_lshl_b32 s4, s15, 4
	s_waitcnt_vscnt null, 0x0
	buffer_gl0_inv
	v_mov_b32_e32 v4, s4
	ds_read_b128 v[4:7], v4
	s_waitcnt lgkmcnt(0)
	v_mul_f64 v[8:9], v[6:7], -v[2:3]
	v_mul_f64 v[6:7], v[0:1], v[6:7]
	v_fma_f64 v[0:1], v[0:1], v[4:5], v[8:9]
	v_fma_f64 v[2:3], v[2:3], v[4:5], v[6:7]
.LBB46_45:
	s_mov_b32 s4, exec_lo
	v_cmpx_eq_u32_e32 31, v15
	s_cbranch_execz .LBB46_47
; %bb.46:
	s_lshl_b64 s[4:5], s[20:21], 4
	v_mov_b32_e32 v4, 0
	s_add_u32 s4, s8, s4
	v_mov_b32_e32 v5, 1
	s_addc_u32 s5, s9, s5
	s_add_u32 s6, s10, s6
	s_addc_u32 s7, s11, s7
	global_store_dwordx4 v4, v[0:3], s[4:5] glc slc
	s_waitcnt_vscnt null, 0x0
	global_store_dword v4, v5, s[6:7]
.LBB46_47:
	s_endpgm
	.section	.rodata,"a",@progbits
	.p2align	6, 0x0
	.amdhsa_kernel _ZN9rocsparseL12csrsv_kernelILj1024ELj32ELb0Eil21rocsparse_complex_numIdEEEvT3_NS_24const_host_device_scalarIT4_EEPKT2_PKS3_PKS5_SD_lPS5_PiSB_iPS3_21rocsparse_index_base_20rocsparse_fill_mode_20rocsparse_diag_type_b
		.amdhsa_group_segment_fixed_size 512
		.amdhsa_private_segment_fixed_size 16
		.amdhsa_kernarg_size 120
		.amdhsa_user_sgpr_count 8
		.amdhsa_user_sgpr_private_segment_buffer 1
		.amdhsa_user_sgpr_dispatch_ptr 0
		.amdhsa_user_sgpr_queue_ptr 0
		.amdhsa_user_sgpr_kernarg_segment_ptr 1
		.amdhsa_user_sgpr_dispatch_id 0
		.amdhsa_user_sgpr_flat_scratch_init 1
		.amdhsa_user_sgpr_private_segment_size 0
		.amdhsa_wavefront_size32 1
		.amdhsa_uses_dynamic_stack 0
		.amdhsa_system_sgpr_private_segment_wavefront_offset 1
		.amdhsa_system_sgpr_workgroup_id_x 1
		.amdhsa_system_sgpr_workgroup_id_y 0
		.amdhsa_system_sgpr_workgroup_id_z 0
		.amdhsa_system_sgpr_workgroup_info 0
		.amdhsa_system_vgpr_workitem_id 0
		.amdhsa_next_free_vgpr 23
		.amdhsa_next_free_sgpr 35
		.amdhsa_reserve_vcc 1
		.amdhsa_reserve_flat_scratch 1
		.amdhsa_float_round_mode_32 0
		.amdhsa_float_round_mode_16_64 0
		.amdhsa_float_denorm_mode_32 3
		.amdhsa_float_denorm_mode_16_64 3
		.amdhsa_dx10_clamp 1
		.amdhsa_ieee_mode 1
		.amdhsa_fp16_overflow 0
		.amdhsa_workgroup_processor_mode 1
		.amdhsa_memory_ordered 1
		.amdhsa_forward_progress 1
		.amdhsa_shared_vgpr_count 0
		.amdhsa_exception_fp_ieee_invalid_op 0
		.amdhsa_exception_fp_denorm_src 0
		.amdhsa_exception_fp_ieee_div_zero 0
		.amdhsa_exception_fp_ieee_overflow 0
		.amdhsa_exception_fp_ieee_underflow 0
		.amdhsa_exception_fp_ieee_inexact 0
		.amdhsa_exception_int_div_zero 0
	.end_amdhsa_kernel
	.section	.text._ZN9rocsparseL12csrsv_kernelILj1024ELj32ELb0Eil21rocsparse_complex_numIdEEEvT3_NS_24const_host_device_scalarIT4_EEPKT2_PKS3_PKS5_SD_lPS5_PiSB_iPS3_21rocsparse_index_base_20rocsparse_fill_mode_20rocsparse_diag_type_b,"axG",@progbits,_ZN9rocsparseL12csrsv_kernelILj1024ELj32ELb0Eil21rocsparse_complex_numIdEEEvT3_NS_24const_host_device_scalarIT4_EEPKT2_PKS3_PKS5_SD_lPS5_PiSB_iPS3_21rocsparse_index_base_20rocsparse_fill_mode_20rocsparse_diag_type_b,comdat
.Lfunc_end46:
	.size	_ZN9rocsparseL12csrsv_kernelILj1024ELj32ELb0Eil21rocsparse_complex_numIdEEEvT3_NS_24const_host_device_scalarIT4_EEPKT2_PKS3_PKS5_SD_lPS5_PiSB_iPS3_21rocsparse_index_base_20rocsparse_fill_mode_20rocsparse_diag_type_b, .Lfunc_end46-_ZN9rocsparseL12csrsv_kernelILj1024ELj32ELb0Eil21rocsparse_complex_numIdEEEvT3_NS_24const_host_device_scalarIT4_EEPKT2_PKS3_PKS5_SD_lPS5_PiSB_iPS3_21rocsparse_index_base_20rocsparse_fill_mode_20rocsparse_diag_type_b
                                        ; -- End function
	.set _ZN9rocsparseL12csrsv_kernelILj1024ELj32ELb0Eil21rocsparse_complex_numIdEEEvT3_NS_24const_host_device_scalarIT4_EEPKT2_PKS3_PKS5_SD_lPS5_PiSB_iPS3_21rocsparse_index_base_20rocsparse_fill_mode_20rocsparse_diag_type_b.num_vgpr, 23
	.set _ZN9rocsparseL12csrsv_kernelILj1024ELj32ELb0Eil21rocsparse_complex_numIdEEEvT3_NS_24const_host_device_scalarIT4_EEPKT2_PKS3_PKS5_SD_lPS5_PiSB_iPS3_21rocsparse_index_base_20rocsparse_fill_mode_20rocsparse_diag_type_b.num_agpr, 0
	.set _ZN9rocsparseL12csrsv_kernelILj1024ELj32ELb0Eil21rocsparse_complex_numIdEEEvT3_NS_24const_host_device_scalarIT4_EEPKT2_PKS3_PKS5_SD_lPS5_PiSB_iPS3_21rocsparse_index_base_20rocsparse_fill_mode_20rocsparse_diag_type_b.numbered_sgpr, 35
	.set _ZN9rocsparseL12csrsv_kernelILj1024ELj32ELb0Eil21rocsparse_complex_numIdEEEvT3_NS_24const_host_device_scalarIT4_EEPKT2_PKS3_PKS5_SD_lPS5_PiSB_iPS3_21rocsparse_index_base_20rocsparse_fill_mode_20rocsparse_diag_type_b.num_named_barrier, 0
	.set _ZN9rocsparseL12csrsv_kernelILj1024ELj32ELb0Eil21rocsparse_complex_numIdEEEvT3_NS_24const_host_device_scalarIT4_EEPKT2_PKS3_PKS5_SD_lPS5_PiSB_iPS3_21rocsparse_index_base_20rocsparse_fill_mode_20rocsparse_diag_type_b.private_seg_size, 16
	.set _ZN9rocsparseL12csrsv_kernelILj1024ELj32ELb0Eil21rocsparse_complex_numIdEEEvT3_NS_24const_host_device_scalarIT4_EEPKT2_PKS3_PKS5_SD_lPS5_PiSB_iPS3_21rocsparse_index_base_20rocsparse_fill_mode_20rocsparse_diag_type_b.uses_vcc, 1
	.set _ZN9rocsparseL12csrsv_kernelILj1024ELj32ELb0Eil21rocsparse_complex_numIdEEEvT3_NS_24const_host_device_scalarIT4_EEPKT2_PKS3_PKS5_SD_lPS5_PiSB_iPS3_21rocsparse_index_base_20rocsparse_fill_mode_20rocsparse_diag_type_b.uses_flat_scratch, 1
	.set _ZN9rocsparseL12csrsv_kernelILj1024ELj32ELb0Eil21rocsparse_complex_numIdEEEvT3_NS_24const_host_device_scalarIT4_EEPKT2_PKS3_PKS5_SD_lPS5_PiSB_iPS3_21rocsparse_index_base_20rocsparse_fill_mode_20rocsparse_diag_type_b.has_dyn_sized_stack, 0
	.set _ZN9rocsparseL12csrsv_kernelILj1024ELj32ELb0Eil21rocsparse_complex_numIdEEEvT3_NS_24const_host_device_scalarIT4_EEPKT2_PKS3_PKS5_SD_lPS5_PiSB_iPS3_21rocsparse_index_base_20rocsparse_fill_mode_20rocsparse_diag_type_b.has_recursion, 0
	.set _ZN9rocsparseL12csrsv_kernelILj1024ELj32ELb0Eil21rocsparse_complex_numIdEEEvT3_NS_24const_host_device_scalarIT4_EEPKT2_PKS3_PKS5_SD_lPS5_PiSB_iPS3_21rocsparse_index_base_20rocsparse_fill_mode_20rocsparse_diag_type_b.has_indirect_call, 0
	.section	.AMDGPU.csdata,"",@progbits
; Kernel info:
; codeLenInByte = 2008
; TotalNumSgprs: 37
; NumVgprs: 23
; ScratchSize: 16
; MemoryBound: 0
; FloatMode: 240
; IeeeMode: 1
; LDSByteSize: 512 bytes/workgroup (compile time only)
; SGPRBlocks: 0
; VGPRBlocks: 2
; NumSGPRsForWavesPerEU: 37
; NumVGPRsForWavesPerEU: 23
; Occupancy: 16
; WaveLimiterHint : 1
; COMPUTE_PGM_RSRC2:SCRATCH_EN: 1
; COMPUTE_PGM_RSRC2:USER_SGPR: 8
; COMPUTE_PGM_RSRC2:TRAP_HANDLER: 0
; COMPUTE_PGM_RSRC2:TGID_X_EN: 1
; COMPUTE_PGM_RSRC2:TGID_Y_EN: 0
; COMPUTE_PGM_RSRC2:TGID_Z_EN: 0
; COMPUTE_PGM_RSRC2:TIDIG_COMP_CNT: 0
	.section	.text._ZN9rocsparseL12csrsv_kernelILj1024ELj64ELb0Eil21rocsparse_complex_numIdEEEvT3_NS_24const_host_device_scalarIT4_EEPKT2_PKS3_PKS5_SD_lPS5_PiSB_iPS3_21rocsparse_index_base_20rocsparse_fill_mode_20rocsparse_diag_type_b,"axG",@progbits,_ZN9rocsparseL12csrsv_kernelILj1024ELj64ELb0Eil21rocsparse_complex_numIdEEEvT3_NS_24const_host_device_scalarIT4_EEPKT2_PKS3_PKS5_SD_lPS5_PiSB_iPS3_21rocsparse_index_base_20rocsparse_fill_mode_20rocsparse_diag_type_b,comdat
	.globl	_ZN9rocsparseL12csrsv_kernelILj1024ELj64ELb0Eil21rocsparse_complex_numIdEEEvT3_NS_24const_host_device_scalarIT4_EEPKT2_PKS3_PKS5_SD_lPS5_PiSB_iPS3_21rocsparse_index_base_20rocsparse_fill_mode_20rocsparse_diag_type_b ; -- Begin function _ZN9rocsparseL12csrsv_kernelILj1024ELj64ELb0Eil21rocsparse_complex_numIdEEEvT3_NS_24const_host_device_scalarIT4_EEPKT2_PKS3_PKS5_SD_lPS5_PiSB_iPS3_21rocsparse_index_base_20rocsparse_fill_mode_20rocsparse_diag_type_b
	.p2align	8
	.type	_ZN9rocsparseL12csrsv_kernelILj1024ELj64ELb0Eil21rocsparse_complex_numIdEEEvT3_NS_24const_host_device_scalarIT4_EEPKT2_PKS3_PKS5_SD_lPS5_PiSB_iPS3_21rocsparse_index_base_20rocsparse_fill_mode_20rocsparse_diag_type_b,@function
_ZN9rocsparseL12csrsv_kernelILj1024ELj64ELb0Eil21rocsparse_complex_numIdEEEvT3_NS_24const_host_device_scalarIT4_EEPKT2_PKS3_PKS5_SD_lPS5_PiSB_iPS3_21rocsparse_index_base_20rocsparse_fill_mode_20rocsparse_diag_type_b: ; @_ZN9rocsparseL12csrsv_kernelILj1024ELj64ELb0Eil21rocsparse_complex_numIdEEEvT3_NS_24const_host_device_scalarIT4_EEPKT2_PKS3_PKS5_SD_lPS5_PiSB_iPS3_21rocsparse_index_base_20rocsparse_fill_mode_20rocsparse_diag_type_b
; %bb.0:
	s_add_u32 s6, s6, s9
	s_addc_u32 s7, s7, 0
	s_setreg_b32 hwreg(HW_REG_FLAT_SCR_LO), s6
	s_setreg_b32 hwreg(HW_REG_FLAT_SCR_HI), s7
	s_clause 0x2
	s_load_dwordx4 s[12:15], s[4:5], 0x68
	s_load_dwordx4 s[16:19], s[4:5], 0x0
	s_load_dwordx2 s[10:11], s[4:5], 0x10
	s_add_u32 s0, s0, s9
	s_addc_u32 s1, s1, 0
	s_mov_b64 s[6:7], src_private_base
	s_waitcnt lgkmcnt(0)
	s_bitcmp1_b32 s15, 0
	v_mov_b32_e32 v3, s19
	s_cselect_b32 s6, -1, 0
	v_mov_b32_e32 v4, s18
	s_and_b32 vcc_lo, s6, exec_lo
	s_cselect_b32 s6, 0, s18
	s_cselect_b32 s7, s7, s19
	v_mov_b32_e32 v1, s6
	v_mov_b32_e32 v2, s7
	buffer_store_dword v3, off, s[0:3], 0 offset:4
	buffer_store_dword v4, off, s[0:3], 0
	v_mov_b32_e32 v8, s10
	v_mov_b32_e32 v9, s11
	flat_load_dwordx2 v[1:2], v[1:2]
	s_cbranch_vccnz .LBB47_2
; %bb.1:
	v_mov_b32_e32 v3, s18
	v_mov_b32_e32 v4, s19
	flat_load_dwordx2 v[8:9], v[3:4] offset:8
.LBB47_2:
	v_readfirstlane_b32 s6, v0
	s_lshl_b32 s7, s8, 4
	s_lshr_b32 s15, s6, 6
	s_add_i32 s6, s15, s7
	s_mov_b32 s7, 0
	v_cmp_le_i64_e64 s8, s[16:17], s[6:7]
	s_and_b32 vcc_lo, exec_lo, s8
	s_cbranch_vccnz .LBB47_47
; %bb.3:
	s_clause 0x1
	s_load_dword s8, s[4:5], 0x58
	s_load_dwordx2 s[10:11], s[4:5], 0x50
	s_lshl_b64 s[6:7], s[6:7], 3
	v_mov_b32_e32 v6, 0
	v_mov_b32_e32 v4, 0
	v_and_b32_e32 v15, 63, v0
	v_mov_b32_e32 v7, 0
	v_mov_b32_e32 v5, 0
	s_mov_b32 s18, exec_lo
	s_waitcnt lgkmcnt(0)
	s_ashr_i32 s9, s8, 31
	s_add_u32 s10, s10, s6
	s_addc_u32 s11, s11, s7
	s_lshl_b64 s[6:7], s[8:9], 3
	s_add_u32 s6, s10, s6
	s_addc_u32 s7, s11, s7
	s_load_dwordx2 s[20:21], s[6:7], 0x0
	s_load_dwordx2 s[8:9], s[4:5], 0x18
	s_waitcnt lgkmcnt(0)
	s_lshl_b64 s[6:7], s[20:21], 2
	s_add_u32 s16, s8, s6
	s_addc_u32 s17, s9, s7
	s_load_dwordx4 s[8:11], s[4:5], 0x40
	s_load_dwordx2 s[16:17], s[16:17], 0x0
	v_cmpx_eq_u32_e32 0, v15
	s_cbranch_execz .LBB47_5
; %bb.4:
	s_load_dwordx4 s[24:27], s[4:5], 0x30
	s_waitcnt lgkmcnt(0)
	s_mul_i32 s19, s20, s27
	s_mul_hi_u32 s22, s20, s26
	s_mul_i32 s23, s21, s26
	s_add_i32 s19, s22, s19
	s_mul_i32 s22, s20, s26
	s_add_i32 s23, s19, s23
	s_lshl_b64 s[22:23], s[22:23], 4
	s_add_u32 s22, s24, s22
	s_addc_u32 s23, s25, s23
	s_load_dwordx4 s[24:27], s[22:23], 0x0
	s_waitcnt vmcnt(0) lgkmcnt(0)
	v_mul_f64 v[3:4], s[26:27], -v[8:9]
	v_mul_f64 v[10:11], v[1:2], s[26:27]
	v_fma_f64 v[6:7], v[1:2], s[24:25], v[3:4]
	v_fma_f64 v[4:5], v[8:9], s[24:25], v[10:11]
.LBB47_5:
	s_or_b32 exec_lo, exec_lo, s18
	v_subrev_nc_u32_e32 v0, s12, v15
	s_waitcnt lgkmcnt(0)
	s_sub_i32 s27, s17, s12
	s_mov_b32 s26, exec_lo
	s_waitcnt vmcnt(0)
	v_add_nc_u32_e32 v8, s16, v0
	v_cmpx_gt_i32_e64 s27, v8
	s_cbranch_execz .LBB47_43
; %bb.6:
	s_clause 0x1
	s_load_dwordx2 s[22:23], s[4:5], 0x60
	s_load_dwordx4 s[16:19], s[4:5], 0x20
	s_cmp_eq_u32 s14, 0
	v_mov_b32_e32 v16, 0
	s_cselect_b32 s29, -1, 0
	s_add_u32 s24, s20, s12
	s_mov_b32 s28, 0
	s_addc_u32 s25, s21, 0
	s_lshl_b32 s30, s15, 4
	s_branch .LBB47_8
.LBB47_7:                               ;   in Loop: Header=BB47_8 Depth=1
	s_or_b32 exec_lo, exec_lo, s31
	s_and_b32 s4, exec_lo, s4
	s_or_b32 s28, s4, s28
	s_andn2_b32 exec_lo, exec_lo, s28
	s_cbranch_execz .LBB47_42
.LBB47_8:                               ; =>This Loop Header: Depth=1
                                        ;     Child Loop BB47_32 Depth 2
	v_ashrrev_i32_e32 v9, 31, v8
	v_lshlrev_b64 v[0:1], 4, v[8:9]
	v_lshlrev_b64 v[9:10], 3, v[8:9]
	s_waitcnt lgkmcnt(0)
	v_add_co_u32 v0, vcc_lo, s18, v0
	v_add_co_ci_u32_e64 v1, null, s19, v1, vcc_lo
	v_add_co_u32 v9, vcc_lo, s16, v9
	v_add_co_ci_u32_e64 v10, null, s17, v10, vcc_lo
	global_load_dwordx4 v[0:3], v[0:1], off slc
	global_load_dwordx2 v[9:10], v[9:10], off slc
	s_waitcnt vmcnt(1)
	v_cmp_eq_f64_e64 s4, 0, v[0:1]
	v_cmp_eq_f64_e64 s5, 0, v[2:3]
	s_waitcnt vmcnt(0)
	v_sub_co_u32 v9, vcc_lo, v9, s12
	v_subrev_co_ci_u32_e64 v10, null, 0, v10, vcc_lo
	v_cmp_eq_u64_e32 vcc_lo, s[20:21], v[9:10]
	s_and_b32 s5, s4, s5
	v_cmp_ne_u64_e64 s4, s[20:21], v[9:10]
	s_and_b32 s5, s5, vcc_lo
	s_and_b32 s5, s29, s5
	s_and_saveexec_b32 s31, s5
	s_cbranch_execz .LBB47_12
; %bb.9:                                ;   in Loop: Header=BB47_8 Depth=1
	v_mbcnt_lo_u32_b32 v0, exec_lo, 0
	s_mov_b32 s33, exec_lo
	v_cmpx_eq_u32_e32 0, v0
	s_cbranch_execz .LBB47_11
; %bb.10:                               ;   in Loop: Header=BB47_8 Depth=1
	v_mov_b32_e32 v0, s24
	v_mov_b32_e32 v1, s25
	global_atomic_umin_x2 v16, v[0:1], s[22:23]
.LBB47_11:                              ;   in Loop: Header=BB47_8 Depth=1
	s_or_b32 exec_lo, exec_lo, s33
	v_mov_b32_e32 v2, 0
	v_mov_b32_e32 v0, 0
	;; [unrolled: 1-line block ×4, first 2 shown]
.LBB47_12:                              ;   in Loop: Header=BB47_8 Depth=1
	s_or_b32 exec_lo, exec_lo, s31
	s_mov_b32 s5, -1
	s_mov_b32 s31, 0
	s_cmp_lt_i32 s13, 1
	s_mov_b32 s33, 0
	s_cbranch_scc1 .LBB47_22
; %bb.13:                               ;   in Loop: Header=BB47_8 Depth=1
	s_cmp_eq_u32 s13, 1
	s_mov_b32 s33, -1
	s_cbranch_scc0 .LBB47_21
; %bb.14:                               ;   in Loop: Header=BB47_8 Depth=1
	s_mov_b32 s33, 0
	s_mov_b32 s34, exec_lo
	v_cmpx_le_i64_e64 s[20:21], v[9:10]
	s_cbranch_execz .LBB47_20
; %bb.15:                               ;   in Loop: Header=BB47_8 Depth=1
	s_mov_b32 s33, -1
	s_and_saveexec_b32 s5, vcc_lo
	s_xor_b32 s5, exec_lo, s5
	s_cbranch_execz .LBB47_19
; %bb.16:                               ;   in Loop: Header=BB47_8 Depth=1
	s_andn2_b32 vcc_lo, exec_lo, s29
	s_cbranch_vccnz .LBB47_18
; %bb.17:                               ;   in Loop: Header=BB47_8 Depth=1
	v_mul_f64 v[11:12], v[2:3], v[2:3]
	v_fma_f64 v[11:12], v[0:1], v[0:1], v[11:12]
	v_div_scale_f64 v[13:14], null, v[11:12], v[11:12], 1.0
	v_div_scale_f64 v[21:22], vcc_lo, 1.0, v[11:12], 1.0
	v_rcp_f64_e32 v[17:18], v[13:14]
	v_fma_f64 v[19:20], -v[13:14], v[17:18], 1.0
	v_fma_f64 v[17:18], v[17:18], v[19:20], v[17:18]
	v_fma_f64 v[19:20], -v[13:14], v[17:18], 1.0
	v_fma_f64 v[17:18], v[17:18], v[19:20], v[17:18]
	v_mul_f64 v[19:20], v[21:22], v[17:18]
	v_fma_f64 v[13:14], -v[13:14], v[19:20], v[21:22]
	v_div_fmas_f64 v[13:14], v[13:14], v[17:18], v[19:20]
	v_fma_f64 v[17:18], v[2:3], 0, v[0:1]
	v_fma_f64 v[19:20], v[0:1], 0, -v[2:3]
	v_div_fixup_f64 v[13:14], v[13:14], v[11:12], 1.0
	v_mul_f64 v[11:12], v[17:18], v[13:14]
	v_mul_f64 v[13:14], v[19:20], v[13:14]
	v_mov_b32_e32 v17, s30
	ds_write_b128 v17, v[11:14]
.LBB47_18:                              ;   in Loop: Header=BB47_8 Depth=1
	s_xor_b32 s33, exec_lo, -1
.LBB47_19:                              ;   in Loop: Header=BB47_8 Depth=1
	s_or_b32 exec_lo, exec_lo, s5
	s_and_b32 s33, s33, exec_lo
.LBB47_20:                              ;   in Loop: Header=BB47_8 Depth=1
	s_or_b32 exec_lo, exec_lo, s34
.LBB47_21:                              ;   in Loop: Header=BB47_8 Depth=1
	s_mov_b32 s5, 0
.LBB47_22:                              ;   in Loop: Header=BB47_8 Depth=1
	s_and_b32 vcc_lo, exec_lo, s5
	s_mov_b32 s5, 4
	s_cbranch_vccz .LBB47_29
; %bb.23:                               ;   in Loop: Header=BB47_8 Depth=1
	s_cmp_eq_u32 s13, 0
	s_cbranch_scc1 .LBB47_25
; %bb.24:                               ;   in Loop: Header=BB47_8 Depth=1
	s_mov_b32 s33, -1
	s_branch .LBB47_28
.LBB47_25:                              ;   in Loop: Header=BB47_8 Depth=1
	s_mov_b32 s33, 0
	s_mov_b32 s5, exec_lo
	v_cmpx_ge_i64_e64 s[20:21], v[9:10]
; %bb.26:                               ;   in Loop: Header=BB47_8 Depth=1
	s_mov_b32 s31, exec_lo
	s_and_b32 s33, s4, exec_lo
; %bb.27:                               ;   in Loop: Header=BB47_8 Depth=1
	s_or_b32 exec_lo, exec_lo, s5
.LBB47_28:                              ;   in Loop: Header=BB47_8 Depth=1
	s_mov_b32 s5, 2
.LBB47_29:                              ;   in Loop: Header=BB47_8 Depth=1
	v_mov_b32_e32 v14, v5
	v_mov_b32_e32 v12, v7
	;; [unrolled: 1-line block ×5, first 2 shown]
	s_and_saveexec_b32 s4, s33
	s_cbranch_execz .LBB47_34
; %bb.30:                               ;   in Loop: Header=BB47_8 Depth=1
	v_lshlrev_b64 v[11:12], 2, v[9:10]
	s_mov_b32 s5, exec_lo
	v_add_co_u32 v11, vcc_lo, s10, v11
	v_add_co_ci_u32_e64 v12, null, s11, v12, vcc_lo
	global_load_dword v13, v[11:12], off glc dlc
	s_waitcnt vmcnt(0)
	v_cmpx_eq_u32_e32 0, v13
	s_cbranch_execz .LBB47_33
; %bb.31:                               ;   in Loop: Header=BB47_8 Depth=1
	s_mov_b32 s33, 0
.LBB47_32:                              ;   Parent Loop BB47_8 Depth=1
                                        ; =>  This Inner Loop Header: Depth=2
	global_load_dword v13, v[11:12], off glc dlc
	s_waitcnt vmcnt(0)
	v_cmp_ne_u32_e32 vcc_lo, 0, v13
	s_or_b32 s33, vcc_lo, s33
	s_andn2_b32 exec_lo, exec_lo, s33
	s_cbranch_execnz .LBB47_32
.LBB47_33:                              ;   in Loop: Header=BB47_8 Depth=1
	s_or_b32 exec_lo, exec_lo, s5
	v_lshlrev_b64 v[9:10], 4, v[9:10]
	s_waitcnt lgkmcnt(0)
	s_waitcnt_vscnt null, 0x0
	buffer_gl1_inv
	buffer_gl0_inv
	s_andn2_b32 s31, s31, exec_lo
	v_add_co_u32 v9, vcc_lo, s8, v9
	v_add_co_ci_u32_e64 v10, null, s9, v10, vcc_lo
	global_load_dwordx4 v[11:14], v[9:10], off
	s_waitcnt vmcnt(0)
	v_fma_f64 v[9:10], -v[0:1], v[11:12], v[6:7]
	v_fma_f64 v[17:18], -v[2:3], v[11:12], v[4:5]
	v_fma_f64 v[11:12], v[2:3], v[13:14], v[9:10]
	v_fma_f64 v[13:14], -v[0:1], v[13:14], v[17:18]
	v_mov_b32_e32 v17, 0
.LBB47_34:                              ;   in Loop: Header=BB47_8 Depth=1
	s_or_b32 exec_lo, exec_lo, s4
	s_and_saveexec_b32 s4, s31
	s_cbranch_execz .LBB47_38
; %bb.35:                               ;   in Loop: Header=BB47_8 Depth=1
	s_andn2_b32 vcc_lo, exec_lo, s29
	s_cbranch_vccnz .LBB47_37
; %bb.36:                               ;   in Loop: Header=BB47_8 Depth=1
	v_mul_f64 v[9:10], v[2:3], v[2:3]
	v_fma_f64 v[9:10], v[0:1], v[0:1], v[9:10]
	v_div_scale_f64 v[11:12], null, v[9:10], v[9:10], 1.0
	v_div_scale_f64 v[19:20], vcc_lo, 1.0, v[9:10], 1.0
	v_rcp_f64_e32 v[13:14], v[11:12]
	v_fma_f64 v[17:18], -v[11:12], v[13:14], 1.0
	v_fma_f64 v[13:14], v[13:14], v[17:18], v[13:14]
	v_fma_f64 v[17:18], -v[11:12], v[13:14], 1.0
	v_fma_f64 v[13:14], v[13:14], v[17:18], v[13:14]
	v_mul_f64 v[17:18], v[19:20], v[13:14]
	v_fma_f64 v[11:12], -v[11:12], v[17:18], v[19:20]
	v_div_fmas_f64 v[11:12], v[11:12], v[13:14], v[17:18]
	v_fma_f64 v[13:14], v[2:3], 0, v[0:1]
	v_fma_f64 v[2:3], v[0:1], 0, -v[2:3]
	v_div_fixup_f64 v[9:10], v[11:12], v[9:10], 1.0
	v_mul_f64 v[0:1], v[13:14], v[9:10]
	v_mul_f64 v[2:3], v[2:3], v[9:10]
	v_mov_b32_e32 v9, s30
	ds_write_b128 v9, v[0:3]
.LBB47_37:                              ;   in Loop: Header=BB47_8 Depth=1
	v_mov_b32_e32 v12, v7
	v_mov_b32_e32 v14, v5
	;; [unrolled: 1-line block ×5, first 2 shown]
.LBB47_38:                              ;   in Loop: Header=BB47_8 Depth=1
	s_or_b32 exec_lo, exec_lo, s4
	v_mov_b32_e32 v4, v13
	v_mov_b32_e32 v6, v11
	;; [unrolled: 1-line block ×4, first 2 shown]
	s_mov_b32 s4, -1
	s_mov_b32 s5, -1
	s_mov_b32 s31, exec_lo
	v_cmpx_gt_i32_e32 4, v17
; %bb.39:                               ;   in Loop: Header=BB47_8 Depth=1
	v_cmp_eq_u32_e32 vcc_lo, 0, v17
	s_orn2_b32 s5, vcc_lo, exec_lo
; %bb.40:                               ;   in Loop: Header=BB47_8 Depth=1
	s_or_b32 exec_lo, exec_lo, s31
	s_and_saveexec_b32 s31, s5
	s_cbranch_execz .LBB47_7
; %bb.41:                               ;   in Loop: Header=BB47_8 Depth=1
	v_add_nc_u32_e32 v8, 64, v8
	v_cmp_le_i32_e32 vcc_lo, s27, v8
	s_orn2_b32 s4, vcc_lo, exec_lo
	s_branch .LBB47_7
.LBB47_42:
	s_or_b32 exec_lo, exec_lo, s28
.LBB47_43:
	s_or_b32 exec_lo, exec_lo, s26
	v_mbcnt_lo_u32_b32 v8, -1, 0
	s_cmp_lg_u32 s14, 0
	v_or_b32_e32 v0, 32, v8
	v_cmp_gt_i32_e32 vcc_lo, 32, v0
	v_cndmask_b32_e32 v0, v8, v0, vcc_lo
	v_lshlrev_b32_e32 v3, 2, v0
	ds_bpermute_b32 v0, v3, v6
	ds_bpermute_b32 v1, v3, v7
	;; [unrolled: 1-line block ×4, first 2 shown]
	s_waitcnt lgkmcnt(2)
	v_add_f64 v[0:1], v[6:7], v[0:1]
	s_waitcnt lgkmcnt(0)
	v_add_f64 v[2:3], v[4:5], v[2:3]
	v_xor_b32_e32 v4, 16, v8
	v_cmp_gt_i32_e32 vcc_lo, 32, v4
	v_cndmask_b32_e32 v4, v8, v4, vcc_lo
	v_lshlrev_b32_e32 v7, 2, v4
	ds_bpermute_b32 v4, v7, v0
	ds_bpermute_b32 v5, v7, v1
	ds_bpermute_b32 v6, v7, v2
	ds_bpermute_b32 v7, v7, v3
	s_waitcnt lgkmcnt(2)
	v_add_f64 v[0:1], v[0:1], v[4:5]
	v_xor_b32_e32 v4, 8, v8
	s_waitcnt lgkmcnt(0)
	v_add_f64 v[2:3], v[2:3], v[6:7]
	v_cmp_gt_i32_e32 vcc_lo, 32, v4
	v_cndmask_b32_e32 v4, v8, v4, vcc_lo
	v_lshlrev_b32_e32 v7, 2, v4
	ds_bpermute_b32 v4, v7, v0
	ds_bpermute_b32 v5, v7, v1
	ds_bpermute_b32 v6, v7, v2
	ds_bpermute_b32 v7, v7, v3
	s_waitcnt lgkmcnt(2)
	v_add_f64 v[0:1], v[0:1], v[4:5]
	v_xor_b32_e32 v4, 4, v8
	s_waitcnt lgkmcnt(0)
	v_add_f64 v[2:3], v[2:3], v[6:7]
	;; [unrolled: 12-line block ×4, first 2 shown]
	v_cmp_gt_i32_e32 vcc_lo, 32, v4
	v_cndmask_b32_e32 v4, v8, v4, vcc_lo
	v_lshlrev_b32_e32 v7, 2, v4
	ds_bpermute_b32 v4, v7, v0
	ds_bpermute_b32 v5, v7, v1
	;; [unrolled: 1-line block ×4, first 2 shown]
	s_waitcnt lgkmcnt(2)
	v_add_f64 v[0:1], v[0:1], v[4:5]
	s_waitcnt lgkmcnt(0)
	v_add_f64 v[2:3], v[2:3], v[6:7]
	s_cbranch_scc1 .LBB47_45
; %bb.44:
	s_lshl_b32 s4, s15, 4
	s_waitcnt_vscnt null, 0x0
	buffer_gl0_inv
	v_mov_b32_e32 v4, s4
	ds_read_b128 v[4:7], v4
	s_waitcnt lgkmcnt(0)
	v_mul_f64 v[8:9], v[6:7], -v[2:3]
	v_mul_f64 v[6:7], v[0:1], v[6:7]
	v_fma_f64 v[0:1], v[0:1], v[4:5], v[8:9]
	v_fma_f64 v[2:3], v[2:3], v[4:5], v[6:7]
.LBB47_45:
	s_mov_b32 s4, exec_lo
	v_cmpx_eq_u32_e32 63, v15
	s_cbranch_execz .LBB47_47
; %bb.46:
	s_lshl_b64 s[4:5], s[20:21], 4
	v_mov_b32_e32 v4, 0
	s_add_u32 s4, s8, s4
	v_mov_b32_e32 v5, 1
	s_addc_u32 s5, s9, s5
	s_add_u32 s6, s10, s6
	s_addc_u32 s7, s11, s7
	global_store_dwordx4 v4, v[0:3], s[4:5] glc slc
	s_waitcnt_vscnt null, 0x0
	global_store_dword v4, v5, s[6:7]
.LBB47_47:
	s_endpgm
	.section	.rodata,"a",@progbits
	.p2align	6, 0x0
	.amdhsa_kernel _ZN9rocsparseL12csrsv_kernelILj1024ELj64ELb0Eil21rocsparse_complex_numIdEEEvT3_NS_24const_host_device_scalarIT4_EEPKT2_PKS3_PKS5_SD_lPS5_PiSB_iPS3_21rocsparse_index_base_20rocsparse_fill_mode_20rocsparse_diag_type_b
		.amdhsa_group_segment_fixed_size 256
		.amdhsa_private_segment_fixed_size 16
		.amdhsa_kernarg_size 120
		.amdhsa_user_sgpr_count 8
		.amdhsa_user_sgpr_private_segment_buffer 1
		.amdhsa_user_sgpr_dispatch_ptr 0
		.amdhsa_user_sgpr_queue_ptr 0
		.amdhsa_user_sgpr_kernarg_segment_ptr 1
		.amdhsa_user_sgpr_dispatch_id 0
		.amdhsa_user_sgpr_flat_scratch_init 1
		.amdhsa_user_sgpr_private_segment_size 0
		.amdhsa_wavefront_size32 1
		.amdhsa_uses_dynamic_stack 0
		.amdhsa_system_sgpr_private_segment_wavefront_offset 1
		.amdhsa_system_sgpr_workgroup_id_x 1
		.amdhsa_system_sgpr_workgroup_id_y 0
		.amdhsa_system_sgpr_workgroup_id_z 0
		.amdhsa_system_sgpr_workgroup_info 0
		.amdhsa_system_vgpr_workitem_id 0
		.amdhsa_next_free_vgpr 23
		.amdhsa_next_free_sgpr 35
		.amdhsa_reserve_vcc 1
		.amdhsa_reserve_flat_scratch 1
		.amdhsa_float_round_mode_32 0
		.amdhsa_float_round_mode_16_64 0
		.amdhsa_float_denorm_mode_32 3
		.amdhsa_float_denorm_mode_16_64 3
		.amdhsa_dx10_clamp 1
		.amdhsa_ieee_mode 1
		.amdhsa_fp16_overflow 0
		.amdhsa_workgroup_processor_mode 1
		.amdhsa_memory_ordered 1
		.amdhsa_forward_progress 1
		.amdhsa_shared_vgpr_count 0
		.amdhsa_exception_fp_ieee_invalid_op 0
		.amdhsa_exception_fp_denorm_src 0
		.amdhsa_exception_fp_ieee_div_zero 0
		.amdhsa_exception_fp_ieee_overflow 0
		.amdhsa_exception_fp_ieee_underflow 0
		.amdhsa_exception_fp_ieee_inexact 0
		.amdhsa_exception_int_div_zero 0
	.end_amdhsa_kernel
	.section	.text._ZN9rocsparseL12csrsv_kernelILj1024ELj64ELb0Eil21rocsparse_complex_numIdEEEvT3_NS_24const_host_device_scalarIT4_EEPKT2_PKS3_PKS5_SD_lPS5_PiSB_iPS3_21rocsparse_index_base_20rocsparse_fill_mode_20rocsparse_diag_type_b,"axG",@progbits,_ZN9rocsparseL12csrsv_kernelILj1024ELj64ELb0Eil21rocsparse_complex_numIdEEEvT3_NS_24const_host_device_scalarIT4_EEPKT2_PKS3_PKS5_SD_lPS5_PiSB_iPS3_21rocsparse_index_base_20rocsparse_fill_mode_20rocsparse_diag_type_b,comdat
.Lfunc_end47:
	.size	_ZN9rocsparseL12csrsv_kernelILj1024ELj64ELb0Eil21rocsparse_complex_numIdEEEvT3_NS_24const_host_device_scalarIT4_EEPKT2_PKS3_PKS5_SD_lPS5_PiSB_iPS3_21rocsparse_index_base_20rocsparse_fill_mode_20rocsparse_diag_type_b, .Lfunc_end47-_ZN9rocsparseL12csrsv_kernelILj1024ELj64ELb0Eil21rocsparse_complex_numIdEEEvT3_NS_24const_host_device_scalarIT4_EEPKT2_PKS3_PKS5_SD_lPS5_PiSB_iPS3_21rocsparse_index_base_20rocsparse_fill_mode_20rocsparse_diag_type_b
                                        ; -- End function
	.set _ZN9rocsparseL12csrsv_kernelILj1024ELj64ELb0Eil21rocsparse_complex_numIdEEEvT3_NS_24const_host_device_scalarIT4_EEPKT2_PKS3_PKS5_SD_lPS5_PiSB_iPS3_21rocsparse_index_base_20rocsparse_fill_mode_20rocsparse_diag_type_b.num_vgpr, 23
	.set _ZN9rocsparseL12csrsv_kernelILj1024ELj64ELb0Eil21rocsparse_complex_numIdEEEvT3_NS_24const_host_device_scalarIT4_EEPKT2_PKS3_PKS5_SD_lPS5_PiSB_iPS3_21rocsparse_index_base_20rocsparse_fill_mode_20rocsparse_diag_type_b.num_agpr, 0
	.set _ZN9rocsparseL12csrsv_kernelILj1024ELj64ELb0Eil21rocsparse_complex_numIdEEEvT3_NS_24const_host_device_scalarIT4_EEPKT2_PKS3_PKS5_SD_lPS5_PiSB_iPS3_21rocsparse_index_base_20rocsparse_fill_mode_20rocsparse_diag_type_b.numbered_sgpr, 35
	.set _ZN9rocsparseL12csrsv_kernelILj1024ELj64ELb0Eil21rocsparse_complex_numIdEEEvT3_NS_24const_host_device_scalarIT4_EEPKT2_PKS3_PKS5_SD_lPS5_PiSB_iPS3_21rocsparse_index_base_20rocsparse_fill_mode_20rocsparse_diag_type_b.num_named_barrier, 0
	.set _ZN9rocsparseL12csrsv_kernelILj1024ELj64ELb0Eil21rocsparse_complex_numIdEEEvT3_NS_24const_host_device_scalarIT4_EEPKT2_PKS3_PKS5_SD_lPS5_PiSB_iPS3_21rocsparse_index_base_20rocsparse_fill_mode_20rocsparse_diag_type_b.private_seg_size, 16
	.set _ZN9rocsparseL12csrsv_kernelILj1024ELj64ELb0Eil21rocsparse_complex_numIdEEEvT3_NS_24const_host_device_scalarIT4_EEPKT2_PKS3_PKS5_SD_lPS5_PiSB_iPS3_21rocsparse_index_base_20rocsparse_fill_mode_20rocsparse_diag_type_b.uses_vcc, 1
	.set _ZN9rocsparseL12csrsv_kernelILj1024ELj64ELb0Eil21rocsparse_complex_numIdEEEvT3_NS_24const_host_device_scalarIT4_EEPKT2_PKS3_PKS5_SD_lPS5_PiSB_iPS3_21rocsparse_index_base_20rocsparse_fill_mode_20rocsparse_diag_type_b.uses_flat_scratch, 1
	.set _ZN9rocsparseL12csrsv_kernelILj1024ELj64ELb0Eil21rocsparse_complex_numIdEEEvT3_NS_24const_host_device_scalarIT4_EEPKT2_PKS3_PKS5_SD_lPS5_PiSB_iPS3_21rocsparse_index_base_20rocsparse_fill_mode_20rocsparse_diag_type_b.has_dyn_sized_stack, 0
	.set _ZN9rocsparseL12csrsv_kernelILj1024ELj64ELb0Eil21rocsparse_complex_numIdEEEvT3_NS_24const_host_device_scalarIT4_EEPKT2_PKS3_PKS5_SD_lPS5_PiSB_iPS3_21rocsparse_index_base_20rocsparse_fill_mode_20rocsparse_diag_type_b.has_recursion, 0
	.set _ZN9rocsparseL12csrsv_kernelILj1024ELj64ELb0Eil21rocsparse_complex_numIdEEEvT3_NS_24const_host_device_scalarIT4_EEPKT2_PKS3_PKS5_SD_lPS5_PiSB_iPS3_21rocsparse_index_base_20rocsparse_fill_mode_20rocsparse_diag_type_b.has_indirect_call, 0
	.section	.AMDGPU.csdata,"",@progbits
; Kernel info:
; codeLenInByte = 2080
; TotalNumSgprs: 37
; NumVgprs: 23
; ScratchSize: 16
; MemoryBound: 0
; FloatMode: 240
; IeeeMode: 1
; LDSByteSize: 256 bytes/workgroup (compile time only)
; SGPRBlocks: 0
; VGPRBlocks: 2
; NumSGPRsForWavesPerEU: 37
; NumVGPRsForWavesPerEU: 23
; Occupancy: 16
; WaveLimiterHint : 1
; COMPUTE_PGM_RSRC2:SCRATCH_EN: 1
; COMPUTE_PGM_RSRC2:USER_SGPR: 8
; COMPUTE_PGM_RSRC2:TRAP_HANDLER: 0
; COMPUTE_PGM_RSRC2:TGID_X_EN: 1
; COMPUTE_PGM_RSRC2:TGID_Y_EN: 0
; COMPUTE_PGM_RSRC2:TGID_Z_EN: 0
; COMPUTE_PGM_RSRC2:TIDIG_COMP_CNT: 0
	.section	.AMDGPU.gpr_maximums,"",@progbits
	.set amdgpu.max_num_vgpr, 0
	.set amdgpu.max_num_agpr, 0
	.set amdgpu.max_num_sgpr, 0
	.section	.AMDGPU.csdata,"",@progbits
	.type	__hip_cuid_a48ab5d40139cd40,@object ; @__hip_cuid_a48ab5d40139cd40
	.section	.bss,"aw",@nobits
	.globl	__hip_cuid_a48ab5d40139cd40
__hip_cuid_a48ab5d40139cd40:
	.byte	0                               ; 0x0
	.size	__hip_cuid_a48ab5d40139cd40, 1

	.ident	"AMD clang version 22.0.0git (https://github.com/RadeonOpenCompute/llvm-project roc-7.2.4 26084 f58b06dce1f9c15707c5f808fd002e18c2accf7e)"
	.section	".note.GNU-stack","",@progbits
	.addrsig
	.addrsig_sym __hip_cuid_a48ab5d40139cd40
	.amdgpu_metadata
---
amdhsa.kernels:
  - .args:
      - .offset:         0
        .size:           4
        .value_kind:     by_value
      - .offset:         8
        .size:           8
        .value_kind:     by_value
      - .actual_access:  read_only
        .address_space:  global
        .offset:         16
        .size:           8
        .value_kind:     global_buffer
      - .actual_access:  read_only
        .address_space:  global
        .offset:         24
        .size:           8
        .value_kind:     global_buffer
      - .actual_access:  read_only
        .address_space:  global
        .offset:         32
        .size:           8
        .value_kind:     global_buffer
      - .actual_access:  read_only
        .address_space:  global
        .offset:         40
        .size:           8
        .value_kind:     global_buffer
      - .offset:         48
        .size:           8
        .value_kind:     by_value
      - .address_space:  global
        .offset:         56
        .size:           8
        .value_kind:     global_buffer
      - .address_space:  global
        .offset:         64
        .size:           8
        .value_kind:     global_buffer
      - .actual_access:  read_only
        .address_space:  global
        .offset:         72
        .size:           8
        .value_kind:     global_buffer
      - .offset:         80
        .size:           4
        .value_kind:     by_value
      - .address_space:  global
        .offset:         88
        .size:           8
        .value_kind:     global_buffer
      - .offset:         96
        .size:           4
        .value_kind:     by_value
      - .offset:         100
        .size:           4
        .value_kind:     by_value
      - .offset:         104
        .size:           4
        .value_kind:     by_value
      - .offset:         108
        .size:           1
        .value_kind:     by_value
    .group_segment_fixed_size: 64
    .kernarg_segment_align: 8
    .kernarg_segment_size: 112
    .language:       OpenCL C
    .language_version:
      - 2
      - 0
    .max_flat_workgroup_size: 1024
    .name:           _ZN9rocsparseL12csrsv_kernelILj1024ELj64ELb1EiifEEvT3_NS_24const_host_device_scalarIT4_EEPKT2_PKS1_PKS3_SB_lPS3_PiS9_iPS1_21rocsparse_index_base_20rocsparse_fill_mode_20rocsparse_diag_type_b
    .private_segment_fixed_size: 0
    .sgpr_count:     31
    .sgpr_spill_count: 0
    .symbol:         _ZN9rocsparseL12csrsv_kernelILj1024ELj64ELb1EiifEEvT3_NS_24const_host_device_scalarIT4_EEPKT2_PKS1_PKS3_SB_lPS3_PiS9_iPS1_21rocsparse_index_base_20rocsparse_fill_mode_20rocsparse_diag_type_b.kd
    .uniform_work_group_size: 1
    .uses_dynamic_stack: false
    .vgpr_count:     11
    .vgpr_spill_count: 0
    .wavefront_size: 32
    .workgroup_processor_mode: 1
  - .args:
      - .offset:         0
        .size:           4
        .value_kind:     by_value
      - .offset:         8
        .size:           8
        .value_kind:     by_value
      - .actual_access:  read_only
        .address_space:  global
        .offset:         16
        .size:           8
        .value_kind:     global_buffer
      - .actual_access:  read_only
        .address_space:  global
        .offset:         24
        .size:           8
        .value_kind:     global_buffer
      - .actual_access:  read_only
        .address_space:  global
        .offset:         32
        .size:           8
        .value_kind:     global_buffer
      - .actual_access:  read_only
        .address_space:  global
        .offset:         40
        .size:           8
        .value_kind:     global_buffer
      - .offset:         48
        .size:           8
        .value_kind:     by_value
      - .address_space:  global
        .offset:         56
        .size:           8
        .value_kind:     global_buffer
      - .address_space:  global
        .offset:         64
        .size:           8
        .value_kind:     global_buffer
      - .actual_access:  read_only
        .address_space:  global
        .offset:         72
        .size:           8
        .value_kind:     global_buffer
      - .offset:         80
        .size:           4
        .value_kind:     by_value
      - .address_space:  global
        .offset:         88
        .size:           8
        .value_kind:     global_buffer
      - .offset:         96
        .size:           4
        .value_kind:     by_value
      - .offset:         100
        .size:           4
        .value_kind:     by_value
      - .offset:         104
        .size:           4
        .value_kind:     by_value
      - .offset:         108
        .size:           1
        .value_kind:     by_value
    .group_segment_fixed_size: 128
    .kernarg_segment_align: 8
    .kernarg_segment_size: 112
    .language:       OpenCL C
    .language_version:
      - 2
      - 0
    .max_flat_workgroup_size: 1024
    .name:           _ZN9rocsparseL12csrsv_kernelILj1024ELj32ELb0EiifEEvT3_NS_24const_host_device_scalarIT4_EEPKT2_PKS1_PKS3_SB_lPS3_PiS9_iPS1_21rocsparse_index_base_20rocsparse_fill_mode_20rocsparse_diag_type_b
    .private_segment_fixed_size: 0
    .sgpr_count:     30
    .sgpr_spill_count: 0
    .symbol:         _ZN9rocsparseL12csrsv_kernelILj1024ELj32ELb0EiifEEvT3_NS_24const_host_device_scalarIT4_EEPKT2_PKS1_PKS3_SB_lPS3_PiS9_iPS1_21rocsparse_index_base_20rocsparse_fill_mode_20rocsparse_diag_type_b.kd
    .uniform_work_group_size: 1
    .uses_dynamic_stack: false
    .vgpr_count:     11
    .vgpr_spill_count: 0
    .wavefront_size: 32
    .workgroup_processor_mode: 1
  - .args:
      - .offset:         0
        .size:           4
        .value_kind:     by_value
      - .offset:         8
        .size:           8
        .value_kind:     by_value
      - .actual_access:  read_only
        .address_space:  global
        .offset:         16
        .size:           8
        .value_kind:     global_buffer
      - .actual_access:  read_only
        .address_space:  global
        .offset:         24
        .size:           8
        .value_kind:     global_buffer
      - .actual_access:  read_only
        .address_space:  global
        .offset:         32
        .size:           8
        .value_kind:     global_buffer
      - .actual_access:  read_only
        .address_space:  global
        .offset:         40
        .size:           8
        .value_kind:     global_buffer
      - .offset:         48
        .size:           8
        .value_kind:     by_value
      - .address_space:  global
        .offset:         56
        .size:           8
        .value_kind:     global_buffer
      - .address_space:  global
        .offset:         64
        .size:           8
        .value_kind:     global_buffer
      - .actual_access:  read_only
        .address_space:  global
        .offset:         72
        .size:           8
        .value_kind:     global_buffer
      - .offset:         80
        .size:           4
        .value_kind:     by_value
      - .address_space:  global
        .offset:         88
        .size:           8
        .value_kind:     global_buffer
      - .offset:         96
        .size:           4
        .value_kind:     by_value
      - .offset:         100
        .size:           4
        .value_kind:     by_value
      - .offset:         104
        .size:           4
        .value_kind:     by_value
      - .offset:         108
        .size:           1
        .value_kind:     by_value
    .group_segment_fixed_size: 64
    .kernarg_segment_align: 8
    .kernarg_segment_size: 112
    .language:       OpenCL C
    .language_version:
      - 2
      - 0
    .max_flat_workgroup_size: 1024
    .name:           _ZN9rocsparseL12csrsv_kernelILj1024ELj64ELb0EiifEEvT3_NS_24const_host_device_scalarIT4_EEPKT2_PKS1_PKS3_SB_lPS3_PiS9_iPS1_21rocsparse_index_base_20rocsparse_fill_mode_20rocsparse_diag_type_b
    .private_segment_fixed_size: 0
    .sgpr_count:     30
    .sgpr_spill_count: 0
    .symbol:         _ZN9rocsparseL12csrsv_kernelILj1024ELj64ELb0EiifEEvT3_NS_24const_host_device_scalarIT4_EEPKT2_PKS1_PKS3_SB_lPS3_PiS9_iPS1_21rocsparse_index_base_20rocsparse_fill_mode_20rocsparse_diag_type_b.kd
    .uniform_work_group_size: 1
    .uses_dynamic_stack: false
    .vgpr_count:     11
    .vgpr_spill_count: 0
    .wavefront_size: 32
    .workgroup_processor_mode: 1
  - .args:
      - .offset:         0
        .size:           4
        .value_kind:     by_value
      - .offset:         8
        .size:           8
        .value_kind:     by_value
      - .actual_access:  read_only
        .address_space:  global
        .offset:         16
        .size:           8
        .value_kind:     global_buffer
      - .actual_access:  read_only
        .address_space:  global
        .offset:         24
        .size:           8
        .value_kind:     global_buffer
      - .actual_access:  read_only
        .address_space:  global
        .offset:         32
        .size:           8
        .value_kind:     global_buffer
      - .actual_access:  read_only
        .address_space:  global
        .offset:         40
        .size:           8
        .value_kind:     global_buffer
      - .offset:         48
        .size:           8
        .value_kind:     by_value
      - .address_space:  global
        .offset:         56
        .size:           8
        .value_kind:     global_buffer
      - .address_space:  global
        .offset:         64
        .size:           8
        .value_kind:     global_buffer
      - .actual_access:  read_only
        .address_space:  global
        .offset:         72
        .size:           8
        .value_kind:     global_buffer
      - .offset:         80
        .size:           4
        .value_kind:     by_value
      - .address_space:  global
        .offset:         88
        .size:           8
        .value_kind:     global_buffer
      - .offset:         96
        .size:           4
        .value_kind:     by_value
      - .offset:         100
        .size:           4
        .value_kind:     by_value
      - .offset:         104
        .size:           4
        .value_kind:     by_value
      - .offset:         108
        .size:           1
        .value_kind:     by_value
    .group_segment_fixed_size: 128
    .kernarg_segment_align: 8
    .kernarg_segment_size: 112
    .language:       OpenCL C
    .language_version:
      - 2
      - 0
    .max_flat_workgroup_size: 1024
    .name:           _ZN9rocsparseL12csrsv_kernelILj1024ELj64ELb1EiidEEvT3_NS_24const_host_device_scalarIT4_EEPKT2_PKS1_PKS3_SB_lPS3_PiS9_iPS1_21rocsparse_index_base_20rocsparse_fill_mode_20rocsparse_diag_type_b
    .private_segment_fixed_size: 0
    .sgpr_count:     32
    .sgpr_spill_count: 0
    .symbol:         _ZN9rocsparseL12csrsv_kernelILj1024ELj64ELb1EiidEEvT3_NS_24const_host_device_scalarIT4_EEPKT2_PKS1_PKS3_SB_lPS3_PiS9_iPS1_21rocsparse_index_base_20rocsparse_fill_mode_20rocsparse_diag_type_b.kd
    .uniform_work_group_size: 1
    .uses_dynamic_stack: false
    .vgpr_count:     17
    .vgpr_spill_count: 0
    .wavefront_size: 32
    .workgroup_processor_mode: 1
  - .args:
      - .offset:         0
        .size:           4
        .value_kind:     by_value
      - .offset:         8
        .size:           8
        .value_kind:     by_value
      - .actual_access:  read_only
        .address_space:  global
        .offset:         16
        .size:           8
        .value_kind:     global_buffer
      - .actual_access:  read_only
        .address_space:  global
        .offset:         24
        .size:           8
        .value_kind:     global_buffer
      - .actual_access:  read_only
        .address_space:  global
        .offset:         32
        .size:           8
        .value_kind:     global_buffer
      - .actual_access:  read_only
        .address_space:  global
        .offset:         40
        .size:           8
        .value_kind:     global_buffer
      - .offset:         48
        .size:           8
        .value_kind:     by_value
      - .address_space:  global
        .offset:         56
        .size:           8
        .value_kind:     global_buffer
      - .address_space:  global
        .offset:         64
        .size:           8
        .value_kind:     global_buffer
      - .actual_access:  read_only
        .address_space:  global
        .offset:         72
        .size:           8
        .value_kind:     global_buffer
      - .offset:         80
        .size:           4
        .value_kind:     by_value
      - .address_space:  global
        .offset:         88
        .size:           8
        .value_kind:     global_buffer
      - .offset:         96
        .size:           4
        .value_kind:     by_value
      - .offset:         100
        .size:           4
        .value_kind:     by_value
      - .offset:         104
        .size:           4
        .value_kind:     by_value
      - .offset:         108
        .size:           1
        .value_kind:     by_value
    .group_segment_fixed_size: 256
    .kernarg_segment_align: 8
    .kernarg_segment_size: 112
    .language:       OpenCL C
    .language_version:
      - 2
      - 0
    .max_flat_workgroup_size: 1024
    .name:           _ZN9rocsparseL12csrsv_kernelILj1024ELj32ELb0EiidEEvT3_NS_24const_host_device_scalarIT4_EEPKT2_PKS1_PKS3_SB_lPS3_PiS9_iPS1_21rocsparse_index_base_20rocsparse_fill_mode_20rocsparse_diag_type_b
    .private_segment_fixed_size: 0
    .sgpr_count:     31
    .sgpr_spill_count: 0
    .symbol:         _ZN9rocsparseL12csrsv_kernelILj1024ELj32ELb0EiidEEvT3_NS_24const_host_device_scalarIT4_EEPKT2_PKS1_PKS3_SB_lPS3_PiS9_iPS1_21rocsparse_index_base_20rocsparse_fill_mode_20rocsparse_diag_type_b.kd
    .uniform_work_group_size: 1
    .uses_dynamic_stack: false
    .vgpr_count:     17
    .vgpr_spill_count: 0
    .wavefront_size: 32
    .workgroup_processor_mode: 1
  - .args:
      - .offset:         0
        .size:           4
        .value_kind:     by_value
      - .offset:         8
        .size:           8
        .value_kind:     by_value
      - .actual_access:  read_only
        .address_space:  global
        .offset:         16
        .size:           8
        .value_kind:     global_buffer
      - .actual_access:  read_only
        .address_space:  global
        .offset:         24
        .size:           8
        .value_kind:     global_buffer
      - .actual_access:  read_only
        .address_space:  global
        .offset:         32
        .size:           8
        .value_kind:     global_buffer
      - .actual_access:  read_only
        .address_space:  global
        .offset:         40
        .size:           8
        .value_kind:     global_buffer
      - .offset:         48
        .size:           8
        .value_kind:     by_value
      - .address_space:  global
        .offset:         56
        .size:           8
        .value_kind:     global_buffer
      - .address_space:  global
        .offset:         64
        .size:           8
        .value_kind:     global_buffer
      - .actual_access:  read_only
        .address_space:  global
        .offset:         72
        .size:           8
        .value_kind:     global_buffer
      - .offset:         80
        .size:           4
        .value_kind:     by_value
      - .address_space:  global
        .offset:         88
        .size:           8
        .value_kind:     global_buffer
      - .offset:         96
        .size:           4
        .value_kind:     by_value
      - .offset:         100
        .size:           4
        .value_kind:     by_value
      - .offset:         104
        .size:           4
        .value_kind:     by_value
      - .offset:         108
        .size:           1
        .value_kind:     by_value
    .group_segment_fixed_size: 128
    .kernarg_segment_align: 8
    .kernarg_segment_size: 112
    .language:       OpenCL C
    .language_version:
      - 2
      - 0
    .max_flat_workgroup_size: 1024
    .name:           _ZN9rocsparseL12csrsv_kernelILj1024ELj64ELb0EiidEEvT3_NS_24const_host_device_scalarIT4_EEPKT2_PKS1_PKS3_SB_lPS3_PiS9_iPS1_21rocsparse_index_base_20rocsparse_fill_mode_20rocsparse_diag_type_b
    .private_segment_fixed_size: 0
    .sgpr_count:     31
    .sgpr_spill_count: 0
    .symbol:         _ZN9rocsparseL12csrsv_kernelILj1024ELj64ELb0EiidEEvT3_NS_24const_host_device_scalarIT4_EEPKT2_PKS1_PKS3_SB_lPS3_PiS9_iPS1_21rocsparse_index_base_20rocsparse_fill_mode_20rocsparse_diag_type_b.kd
    .uniform_work_group_size: 1
    .uses_dynamic_stack: false
    .vgpr_count:     17
    .vgpr_spill_count: 0
    .wavefront_size: 32
    .workgroup_processor_mode: 1
  - .args:
      - .offset:         0
        .size:           4
        .value_kind:     by_value
      - .offset:         8
        .size:           8
        .value_kind:     by_value
      - .actual_access:  read_only
        .address_space:  global
        .offset:         16
        .size:           8
        .value_kind:     global_buffer
      - .actual_access:  read_only
        .address_space:  global
        .offset:         24
        .size:           8
        .value_kind:     global_buffer
      - .actual_access:  read_only
        .address_space:  global
        .offset:         32
        .size:           8
        .value_kind:     global_buffer
      - .actual_access:  read_only
        .address_space:  global
        .offset:         40
        .size:           8
        .value_kind:     global_buffer
      - .offset:         48
        .size:           8
        .value_kind:     by_value
      - .address_space:  global
        .offset:         56
        .size:           8
        .value_kind:     global_buffer
      - .address_space:  global
        .offset:         64
        .size:           8
        .value_kind:     global_buffer
      - .actual_access:  read_only
        .address_space:  global
        .offset:         72
        .size:           8
        .value_kind:     global_buffer
      - .offset:         80
        .size:           4
        .value_kind:     by_value
      - .address_space:  global
        .offset:         88
        .size:           8
        .value_kind:     global_buffer
      - .offset:         96
        .size:           4
        .value_kind:     by_value
      - .offset:         100
        .size:           4
        .value_kind:     by_value
      - .offset:         104
        .size:           4
        .value_kind:     by_value
      - .offset:         108
        .size:           1
        .value_kind:     by_value
    .group_segment_fixed_size: 128
    .kernarg_segment_align: 8
    .kernarg_segment_size: 112
    .language:       OpenCL C
    .language_version:
      - 2
      - 0
    .max_flat_workgroup_size: 1024
    .name:           _ZN9rocsparseL12csrsv_kernelILj1024ELj64ELb1Eii21rocsparse_complex_numIfEEEvT3_NS_24const_host_device_scalarIT4_EEPKT2_PKS3_PKS5_SD_lPS5_PiSB_iPS3_21rocsparse_index_base_20rocsparse_fill_mode_20rocsparse_diag_type_b
    .private_segment_fixed_size: 0
    .sgpr_count:     32
    .sgpr_spill_count: 0
    .symbol:         _ZN9rocsparseL12csrsv_kernelILj1024ELj64ELb1Eii21rocsparse_complex_numIfEEEvT3_NS_24const_host_device_scalarIT4_EEPKT2_PKS3_PKS5_SD_lPS5_PiSB_iPS3_21rocsparse_index_base_20rocsparse_fill_mode_20rocsparse_diag_type_b.kd
    .uniform_work_group_size: 1
    .uses_dynamic_stack: false
    .vgpr_count:     14
    .vgpr_spill_count: 0
    .wavefront_size: 32
    .workgroup_processor_mode: 1
  - .args:
      - .offset:         0
        .size:           4
        .value_kind:     by_value
      - .offset:         8
        .size:           8
        .value_kind:     by_value
      - .actual_access:  read_only
        .address_space:  global
        .offset:         16
        .size:           8
        .value_kind:     global_buffer
      - .actual_access:  read_only
        .address_space:  global
        .offset:         24
        .size:           8
        .value_kind:     global_buffer
      - .actual_access:  read_only
        .address_space:  global
        .offset:         32
        .size:           8
        .value_kind:     global_buffer
      - .actual_access:  read_only
        .address_space:  global
        .offset:         40
        .size:           8
        .value_kind:     global_buffer
      - .offset:         48
        .size:           8
        .value_kind:     by_value
      - .address_space:  global
        .offset:         56
        .size:           8
        .value_kind:     global_buffer
      - .address_space:  global
        .offset:         64
        .size:           8
        .value_kind:     global_buffer
      - .actual_access:  read_only
        .address_space:  global
        .offset:         72
        .size:           8
        .value_kind:     global_buffer
      - .offset:         80
        .size:           4
        .value_kind:     by_value
      - .address_space:  global
        .offset:         88
        .size:           8
        .value_kind:     global_buffer
      - .offset:         96
        .size:           4
        .value_kind:     by_value
      - .offset:         100
        .size:           4
        .value_kind:     by_value
      - .offset:         104
        .size:           4
        .value_kind:     by_value
      - .offset:         108
        .size:           1
        .value_kind:     by_value
    .group_segment_fixed_size: 256
    .kernarg_segment_align: 8
    .kernarg_segment_size: 112
    .language:       OpenCL C
    .language_version:
      - 2
      - 0
    .max_flat_workgroup_size: 1024
    .name:           _ZN9rocsparseL12csrsv_kernelILj1024ELj32ELb0Eii21rocsparse_complex_numIfEEEvT3_NS_24const_host_device_scalarIT4_EEPKT2_PKS3_PKS5_SD_lPS5_PiSB_iPS3_21rocsparse_index_base_20rocsparse_fill_mode_20rocsparse_diag_type_b
    .private_segment_fixed_size: 0
    .sgpr_count:     31
    .sgpr_spill_count: 0
    .symbol:         _ZN9rocsparseL12csrsv_kernelILj1024ELj32ELb0Eii21rocsparse_complex_numIfEEEvT3_NS_24const_host_device_scalarIT4_EEPKT2_PKS3_PKS5_SD_lPS5_PiSB_iPS3_21rocsparse_index_base_20rocsparse_fill_mode_20rocsparse_diag_type_b.kd
    .uniform_work_group_size: 1
    .uses_dynamic_stack: false
    .vgpr_count:     14
    .vgpr_spill_count: 0
    .wavefront_size: 32
    .workgroup_processor_mode: 1
  - .args:
      - .offset:         0
        .size:           4
        .value_kind:     by_value
      - .offset:         8
        .size:           8
        .value_kind:     by_value
      - .actual_access:  read_only
        .address_space:  global
        .offset:         16
        .size:           8
        .value_kind:     global_buffer
      - .actual_access:  read_only
        .address_space:  global
        .offset:         24
        .size:           8
        .value_kind:     global_buffer
      - .actual_access:  read_only
        .address_space:  global
        .offset:         32
        .size:           8
        .value_kind:     global_buffer
      - .actual_access:  read_only
        .address_space:  global
        .offset:         40
        .size:           8
        .value_kind:     global_buffer
      - .offset:         48
        .size:           8
        .value_kind:     by_value
      - .address_space:  global
        .offset:         56
        .size:           8
        .value_kind:     global_buffer
      - .address_space:  global
        .offset:         64
        .size:           8
        .value_kind:     global_buffer
      - .actual_access:  read_only
        .address_space:  global
        .offset:         72
        .size:           8
        .value_kind:     global_buffer
      - .offset:         80
        .size:           4
        .value_kind:     by_value
      - .address_space:  global
        .offset:         88
        .size:           8
        .value_kind:     global_buffer
      - .offset:         96
        .size:           4
        .value_kind:     by_value
      - .offset:         100
        .size:           4
        .value_kind:     by_value
      - .offset:         104
        .size:           4
        .value_kind:     by_value
      - .offset:         108
        .size:           1
        .value_kind:     by_value
    .group_segment_fixed_size: 128
    .kernarg_segment_align: 8
    .kernarg_segment_size: 112
    .language:       OpenCL C
    .language_version:
      - 2
      - 0
    .max_flat_workgroup_size: 1024
    .name:           _ZN9rocsparseL12csrsv_kernelILj1024ELj64ELb0Eii21rocsparse_complex_numIfEEEvT3_NS_24const_host_device_scalarIT4_EEPKT2_PKS3_PKS5_SD_lPS5_PiSB_iPS3_21rocsparse_index_base_20rocsparse_fill_mode_20rocsparse_diag_type_b
    .private_segment_fixed_size: 0
    .sgpr_count:     31
    .sgpr_spill_count: 0
    .symbol:         _ZN9rocsparseL12csrsv_kernelILj1024ELj64ELb0Eii21rocsparse_complex_numIfEEEvT3_NS_24const_host_device_scalarIT4_EEPKT2_PKS3_PKS5_SD_lPS5_PiSB_iPS3_21rocsparse_index_base_20rocsparse_fill_mode_20rocsparse_diag_type_b.kd
    .uniform_work_group_size: 1
    .uses_dynamic_stack: false
    .vgpr_count:     14
    .vgpr_spill_count: 0
    .wavefront_size: 32
    .workgroup_processor_mode: 1
  - .args:
      - .offset:         0
        .size:           4
        .value_kind:     by_value
      - .offset:         8
        .size:           16
        .value_kind:     by_value
      - .actual_access:  read_only
        .address_space:  global
        .offset:         24
        .size:           8
        .value_kind:     global_buffer
      - .actual_access:  read_only
        .address_space:  global
        .offset:         32
        .size:           8
        .value_kind:     global_buffer
      - .actual_access:  read_only
        .address_space:  global
        .offset:         40
        .size:           8
        .value_kind:     global_buffer
      - .actual_access:  read_only
        .address_space:  global
        .offset:         48
        .size:           8
        .value_kind:     global_buffer
      - .offset:         56
        .size:           8
        .value_kind:     by_value
      - .address_space:  global
        .offset:         64
        .size:           8
        .value_kind:     global_buffer
      - .address_space:  global
        .offset:         72
        .size:           8
        .value_kind:     global_buffer
      - .actual_access:  read_only
        .address_space:  global
        .offset:         80
        .size:           8
        .value_kind:     global_buffer
      - .offset:         88
        .size:           4
        .value_kind:     by_value
      - .address_space:  global
        .offset:         96
        .size:           8
        .value_kind:     global_buffer
      - .offset:         104
        .size:           4
        .value_kind:     by_value
      - .offset:         108
        .size:           4
        .value_kind:     by_value
      - .offset:         112
        .size:           4
        .value_kind:     by_value
      - .offset:         116
        .size:           1
        .value_kind:     by_value
    .group_segment_fixed_size: 256
    .kernarg_segment_align: 8
    .kernarg_segment_size: 120
    .language:       OpenCL C
    .language_version:
      - 2
      - 0
    .max_flat_workgroup_size: 1024
    .name:           _ZN9rocsparseL12csrsv_kernelILj1024ELj64ELb1Eii21rocsparse_complex_numIdEEEvT3_NS_24const_host_device_scalarIT4_EEPKT2_PKS3_PKS5_SD_lPS5_PiSB_iPS3_21rocsparse_index_base_20rocsparse_fill_mode_20rocsparse_diag_type_b
    .private_segment_fixed_size: 16
    .sgpr_count:     37
    .sgpr_spill_count: 0
    .symbol:         _ZN9rocsparseL12csrsv_kernelILj1024ELj64ELb1Eii21rocsparse_complex_numIdEEEvT3_NS_24const_host_device_scalarIT4_EEPKT2_PKS3_PKS5_SD_lPS5_PiSB_iPS3_21rocsparse_index_base_20rocsparse_fill_mode_20rocsparse_diag_type_b.kd
    .uniform_work_group_size: 1
    .uses_dynamic_stack: false
    .vgpr_count:     22
    .vgpr_spill_count: 0
    .wavefront_size: 32
    .workgroup_processor_mode: 1
  - .args:
      - .offset:         0
        .size:           4
        .value_kind:     by_value
      - .offset:         8
        .size:           16
        .value_kind:     by_value
      - .actual_access:  read_only
        .address_space:  global
        .offset:         24
        .size:           8
        .value_kind:     global_buffer
      - .actual_access:  read_only
        .address_space:  global
        .offset:         32
        .size:           8
        .value_kind:     global_buffer
      - .actual_access:  read_only
        .address_space:  global
        .offset:         40
        .size:           8
        .value_kind:     global_buffer
      - .actual_access:  read_only
        .address_space:  global
        .offset:         48
        .size:           8
        .value_kind:     global_buffer
      - .offset:         56
        .size:           8
        .value_kind:     by_value
      - .address_space:  global
        .offset:         64
        .size:           8
        .value_kind:     global_buffer
      - .address_space:  global
        .offset:         72
        .size:           8
        .value_kind:     global_buffer
      - .actual_access:  read_only
        .address_space:  global
        .offset:         80
        .size:           8
        .value_kind:     global_buffer
      - .offset:         88
        .size:           4
        .value_kind:     by_value
      - .address_space:  global
        .offset:         96
        .size:           8
        .value_kind:     global_buffer
      - .offset:         104
        .size:           4
        .value_kind:     by_value
      - .offset:         108
        .size:           4
        .value_kind:     by_value
      - .offset:         112
        .size:           4
        .value_kind:     by_value
      - .offset:         116
        .size:           1
        .value_kind:     by_value
    .group_segment_fixed_size: 512
    .kernarg_segment_align: 8
    .kernarg_segment_size: 120
    .language:       OpenCL C
    .language_version:
      - 2
      - 0
    .max_flat_workgroup_size: 1024
    .name:           _ZN9rocsparseL12csrsv_kernelILj1024ELj32ELb0Eii21rocsparse_complex_numIdEEEvT3_NS_24const_host_device_scalarIT4_EEPKT2_PKS3_PKS5_SD_lPS5_PiSB_iPS3_21rocsparse_index_base_20rocsparse_fill_mode_20rocsparse_diag_type_b
    .private_segment_fixed_size: 16
    .sgpr_count:     36
    .sgpr_spill_count: 0
    .symbol:         _ZN9rocsparseL12csrsv_kernelILj1024ELj32ELb0Eii21rocsparse_complex_numIdEEEvT3_NS_24const_host_device_scalarIT4_EEPKT2_PKS3_PKS5_SD_lPS5_PiSB_iPS3_21rocsparse_index_base_20rocsparse_fill_mode_20rocsparse_diag_type_b.kd
    .uniform_work_group_size: 1
    .uses_dynamic_stack: false
    .vgpr_count:     22
    .vgpr_spill_count: 0
    .wavefront_size: 32
    .workgroup_processor_mode: 1
  - .args:
      - .offset:         0
        .size:           4
        .value_kind:     by_value
      - .offset:         8
        .size:           16
        .value_kind:     by_value
      - .actual_access:  read_only
        .address_space:  global
        .offset:         24
        .size:           8
        .value_kind:     global_buffer
      - .actual_access:  read_only
        .address_space:  global
        .offset:         32
        .size:           8
        .value_kind:     global_buffer
      - .actual_access:  read_only
        .address_space:  global
        .offset:         40
        .size:           8
        .value_kind:     global_buffer
      - .actual_access:  read_only
        .address_space:  global
        .offset:         48
        .size:           8
        .value_kind:     global_buffer
      - .offset:         56
        .size:           8
        .value_kind:     by_value
      - .address_space:  global
        .offset:         64
        .size:           8
        .value_kind:     global_buffer
      - .address_space:  global
        .offset:         72
        .size:           8
        .value_kind:     global_buffer
      - .actual_access:  read_only
        .address_space:  global
        .offset:         80
        .size:           8
        .value_kind:     global_buffer
      - .offset:         88
        .size:           4
        .value_kind:     by_value
      - .address_space:  global
        .offset:         96
        .size:           8
        .value_kind:     global_buffer
      - .offset:         104
        .size:           4
        .value_kind:     by_value
      - .offset:         108
        .size:           4
        .value_kind:     by_value
      - .offset:         112
        .size:           4
        .value_kind:     by_value
      - .offset:         116
        .size:           1
        .value_kind:     by_value
    .group_segment_fixed_size: 256
    .kernarg_segment_align: 8
    .kernarg_segment_size: 120
    .language:       OpenCL C
    .language_version:
      - 2
      - 0
    .max_flat_workgroup_size: 1024
    .name:           _ZN9rocsparseL12csrsv_kernelILj1024ELj64ELb0Eii21rocsparse_complex_numIdEEEvT3_NS_24const_host_device_scalarIT4_EEPKT2_PKS3_PKS5_SD_lPS5_PiSB_iPS3_21rocsparse_index_base_20rocsparse_fill_mode_20rocsparse_diag_type_b
    .private_segment_fixed_size: 16
    .sgpr_count:     36
    .sgpr_spill_count: 0
    .symbol:         _ZN9rocsparseL12csrsv_kernelILj1024ELj64ELb0Eii21rocsparse_complex_numIdEEEvT3_NS_24const_host_device_scalarIT4_EEPKT2_PKS3_PKS5_SD_lPS5_PiSB_iPS3_21rocsparse_index_base_20rocsparse_fill_mode_20rocsparse_diag_type_b.kd
    .uniform_work_group_size: 1
    .uses_dynamic_stack: false
    .vgpr_count:     22
    .vgpr_spill_count: 0
    .wavefront_size: 32
    .workgroup_processor_mode: 1
  - .args:
      - .offset:         0
        .size:           4
        .value_kind:     by_value
      - .offset:         8
        .size:           8
        .value_kind:     by_value
      - .actual_access:  read_only
        .address_space:  global
        .offset:         16
        .size:           8
        .value_kind:     global_buffer
      - .actual_access:  read_only
        .address_space:  global
        .offset:         24
        .size:           8
        .value_kind:     global_buffer
      - .actual_access:  read_only
        .address_space:  global
        .offset:         32
        .size:           8
        .value_kind:     global_buffer
      - .actual_access:  read_only
        .address_space:  global
        .offset:         40
        .size:           8
        .value_kind:     global_buffer
      - .offset:         48
        .size:           8
        .value_kind:     by_value
      - .address_space:  global
        .offset:         56
        .size:           8
        .value_kind:     global_buffer
      - .address_space:  global
        .offset:         64
        .size:           8
        .value_kind:     global_buffer
      - .actual_access:  read_only
        .address_space:  global
        .offset:         72
        .size:           8
        .value_kind:     global_buffer
      - .offset:         80
        .size:           4
        .value_kind:     by_value
      - .address_space:  global
        .offset:         88
        .size:           8
        .value_kind:     global_buffer
      - .offset:         96
        .size:           4
        .value_kind:     by_value
      - .offset:         100
        .size:           4
        .value_kind:     by_value
      - .offset:         104
        .size:           4
        .value_kind:     by_value
      - .offset:         108
        .size:           1
        .value_kind:     by_value
    .group_segment_fixed_size: 64
    .kernarg_segment_align: 8
    .kernarg_segment_size: 112
    .language:       OpenCL C
    .language_version:
      - 2
      - 0
    .max_flat_workgroup_size: 1024
    .name:           _ZN9rocsparseL12csrsv_kernelILj1024ELj64ELb1ElifEEvT3_NS_24const_host_device_scalarIT4_EEPKT2_PKS1_PKS3_SB_lPS3_PiS9_iPS1_21rocsparse_index_base_20rocsparse_fill_mode_20rocsparse_diag_type_b
    .private_segment_fixed_size: 0
    .sgpr_count:     31
    .sgpr_spill_count: 0
    .symbol:         _ZN9rocsparseL12csrsv_kernelILj1024ELj64ELb1ElifEEvT3_NS_24const_host_device_scalarIT4_EEPKT2_PKS1_PKS3_SB_lPS3_PiS9_iPS1_21rocsparse_index_base_20rocsparse_fill_mode_20rocsparse_diag_type_b.kd
    .uniform_work_group_size: 1
    .uses_dynamic_stack: false
    .vgpr_count:     12
    .vgpr_spill_count: 0
    .wavefront_size: 32
    .workgroup_processor_mode: 1
  - .args:
      - .offset:         0
        .size:           4
        .value_kind:     by_value
      - .offset:         8
        .size:           8
        .value_kind:     by_value
      - .actual_access:  read_only
        .address_space:  global
        .offset:         16
        .size:           8
        .value_kind:     global_buffer
      - .actual_access:  read_only
        .address_space:  global
        .offset:         24
        .size:           8
        .value_kind:     global_buffer
      - .actual_access:  read_only
        .address_space:  global
        .offset:         32
        .size:           8
        .value_kind:     global_buffer
      - .actual_access:  read_only
        .address_space:  global
        .offset:         40
        .size:           8
        .value_kind:     global_buffer
      - .offset:         48
        .size:           8
        .value_kind:     by_value
      - .address_space:  global
        .offset:         56
        .size:           8
        .value_kind:     global_buffer
      - .address_space:  global
        .offset:         64
        .size:           8
        .value_kind:     global_buffer
      - .actual_access:  read_only
        .address_space:  global
        .offset:         72
        .size:           8
        .value_kind:     global_buffer
      - .offset:         80
        .size:           4
        .value_kind:     by_value
      - .address_space:  global
        .offset:         88
        .size:           8
        .value_kind:     global_buffer
      - .offset:         96
        .size:           4
        .value_kind:     by_value
      - .offset:         100
        .size:           4
        .value_kind:     by_value
      - .offset:         104
        .size:           4
        .value_kind:     by_value
      - .offset:         108
        .size:           1
        .value_kind:     by_value
    .group_segment_fixed_size: 128
    .kernarg_segment_align: 8
    .kernarg_segment_size: 112
    .language:       OpenCL C
    .language_version:
      - 2
      - 0
    .max_flat_workgroup_size: 1024
    .name:           _ZN9rocsparseL12csrsv_kernelILj1024ELj32ELb0ElifEEvT3_NS_24const_host_device_scalarIT4_EEPKT2_PKS1_PKS3_SB_lPS3_PiS9_iPS1_21rocsparse_index_base_20rocsparse_fill_mode_20rocsparse_diag_type_b
    .private_segment_fixed_size: 0
    .sgpr_count:     30
    .sgpr_spill_count: 0
    .symbol:         _ZN9rocsparseL12csrsv_kernelILj1024ELj32ELb0ElifEEvT3_NS_24const_host_device_scalarIT4_EEPKT2_PKS1_PKS3_SB_lPS3_PiS9_iPS1_21rocsparse_index_base_20rocsparse_fill_mode_20rocsparse_diag_type_b.kd
    .uniform_work_group_size: 1
    .uses_dynamic_stack: false
    .vgpr_count:     12
    .vgpr_spill_count: 0
    .wavefront_size: 32
    .workgroup_processor_mode: 1
  - .args:
      - .offset:         0
        .size:           4
        .value_kind:     by_value
      - .offset:         8
        .size:           8
        .value_kind:     by_value
      - .actual_access:  read_only
        .address_space:  global
        .offset:         16
        .size:           8
        .value_kind:     global_buffer
      - .actual_access:  read_only
        .address_space:  global
        .offset:         24
        .size:           8
        .value_kind:     global_buffer
      - .actual_access:  read_only
        .address_space:  global
        .offset:         32
        .size:           8
        .value_kind:     global_buffer
      - .actual_access:  read_only
        .address_space:  global
        .offset:         40
        .size:           8
        .value_kind:     global_buffer
      - .offset:         48
        .size:           8
        .value_kind:     by_value
      - .address_space:  global
        .offset:         56
        .size:           8
        .value_kind:     global_buffer
      - .address_space:  global
        .offset:         64
        .size:           8
        .value_kind:     global_buffer
      - .actual_access:  read_only
        .address_space:  global
        .offset:         72
        .size:           8
        .value_kind:     global_buffer
      - .offset:         80
        .size:           4
        .value_kind:     by_value
      - .address_space:  global
        .offset:         88
        .size:           8
        .value_kind:     global_buffer
      - .offset:         96
        .size:           4
        .value_kind:     by_value
      - .offset:         100
        .size:           4
        .value_kind:     by_value
      - .offset:         104
        .size:           4
        .value_kind:     by_value
      - .offset:         108
        .size:           1
        .value_kind:     by_value
    .group_segment_fixed_size: 64
    .kernarg_segment_align: 8
    .kernarg_segment_size: 112
    .language:       OpenCL C
    .language_version:
      - 2
      - 0
    .max_flat_workgroup_size: 1024
    .name:           _ZN9rocsparseL12csrsv_kernelILj1024ELj64ELb0ElifEEvT3_NS_24const_host_device_scalarIT4_EEPKT2_PKS1_PKS3_SB_lPS3_PiS9_iPS1_21rocsparse_index_base_20rocsparse_fill_mode_20rocsparse_diag_type_b
    .private_segment_fixed_size: 0
    .sgpr_count:     30
    .sgpr_spill_count: 0
    .symbol:         _ZN9rocsparseL12csrsv_kernelILj1024ELj64ELb0ElifEEvT3_NS_24const_host_device_scalarIT4_EEPKT2_PKS1_PKS3_SB_lPS3_PiS9_iPS1_21rocsparse_index_base_20rocsparse_fill_mode_20rocsparse_diag_type_b.kd
    .uniform_work_group_size: 1
    .uses_dynamic_stack: false
    .vgpr_count:     12
    .vgpr_spill_count: 0
    .wavefront_size: 32
    .workgroup_processor_mode: 1
  - .args:
      - .offset:         0
        .size:           4
        .value_kind:     by_value
      - .offset:         8
        .size:           8
        .value_kind:     by_value
      - .actual_access:  read_only
        .address_space:  global
        .offset:         16
        .size:           8
        .value_kind:     global_buffer
      - .actual_access:  read_only
        .address_space:  global
        .offset:         24
        .size:           8
        .value_kind:     global_buffer
      - .actual_access:  read_only
        .address_space:  global
        .offset:         32
        .size:           8
        .value_kind:     global_buffer
      - .actual_access:  read_only
        .address_space:  global
        .offset:         40
        .size:           8
        .value_kind:     global_buffer
      - .offset:         48
        .size:           8
        .value_kind:     by_value
      - .address_space:  global
        .offset:         56
        .size:           8
        .value_kind:     global_buffer
      - .address_space:  global
        .offset:         64
        .size:           8
        .value_kind:     global_buffer
      - .actual_access:  read_only
        .address_space:  global
        .offset:         72
        .size:           8
        .value_kind:     global_buffer
      - .offset:         80
        .size:           4
        .value_kind:     by_value
      - .address_space:  global
        .offset:         88
        .size:           8
        .value_kind:     global_buffer
      - .offset:         96
        .size:           4
        .value_kind:     by_value
      - .offset:         100
        .size:           4
        .value_kind:     by_value
      - .offset:         104
        .size:           4
        .value_kind:     by_value
      - .offset:         108
        .size:           1
        .value_kind:     by_value
    .group_segment_fixed_size: 128
    .kernarg_segment_align: 8
    .kernarg_segment_size: 112
    .language:       OpenCL C
    .language_version:
      - 2
      - 0
    .max_flat_workgroup_size: 1024
    .name:           _ZN9rocsparseL12csrsv_kernelILj1024ELj64ELb1ElidEEvT3_NS_24const_host_device_scalarIT4_EEPKT2_PKS1_PKS3_SB_lPS3_PiS9_iPS1_21rocsparse_index_base_20rocsparse_fill_mode_20rocsparse_diag_type_b
    .private_segment_fixed_size: 0
    .sgpr_count:     33
    .sgpr_spill_count: 0
    .symbol:         _ZN9rocsparseL12csrsv_kernelILj1024ELj64ELb1ElidEEvT3_NS_24const_host_device_scalarIT4_EEPKT2_PKS1_PKS3_SB_lPS3_PiS9_iPS1_21rocsparse_index_base_20rocsparse_fill_mode_20rocsparse_diag_type_b.kd
    .uniform_work_group_size: 1
    .uses_dynamic_stack: false
    .vgpr_count:     18
    .vgpr_spill_count: 0
    .wavefront_size: 32
    .workgroup_processor_mode: 1
  - .args:
      - .offset:         0
        .size:           4
        .value_kind:     by_value
      - .offset:         8
        .size:           8
        .value_kind:     by_value
      - .actual_access:  read_only
        .address_space:  global
        .offset:         16
        .size:           8
        .value_kind:     global_buffer
      - .actual_access:  read_only
        .address_space:  global
        .offset:         24
        .size:           8
        .value_kind:     global_buffer
      - .actual_access:  read_only
        .address_space:  global
        .offset:         32
        .size:           8
        .value_kind:     global_buffer
      - .actual_access:  read_only
        .address_space:  global
        .offset:         40
        .size:           8
        .value_kind:     global_buffer
      - .offset:         48
        .size:           8
        .value_kind:     by_value
      - .address_space:  global
        .offset:         56
        .size:           8
        .value_kind:     global_buffer
      - .address_space:  global
        .offset:         64
        .size:           8
        .value_kind:     global_buffer
      - .actual_access:  read_only
        .address_space:  global
        .offset:         72
        .size:           8
        .value_kind:     global_buffer
      - .offset:         80
        .size:           4
        .value_kind:     by_value
      - .address_space:  global
        .offset:         88
        .size:           8
        .value_kind:     global_buffer
      - .offset:         96
        .size:           4
        .value_kind:     by_value
      - .offset:         100
        .size:           4
        .value_kind:     by_value
      - .offset:         104
        .size:           4
        .value_kind:     by_value
      - .offset:         108
        .size:           1
        .value_kind:     by_value
    .group_segment_fixed_size: 256
    .kernarg_segment_align: 8
    .kernarg_segment_size: 112
    .language:       OpenCL C
    .language_version:
      - 2
      - 0
    .max_flat_workgroup_size: 1024
    .name:           _ZN9rocsparseL12csrsv_kernelILj1024ELj32ELb0ElidEEvT3_NS_24const_host_device_scalarIT4_EEPKT2_PKS1_PKS3_SB_lPS3_PiS9_iPS1_21rocsparse_index_base_20rocsparse_fill_mode_20rocsparse_diag_type_b
    .private_segment_fixed_size: 0
    .sgpr_count:     32
    .sgpr_spill_count: 0
    .symbol:         _ZN9rocsparseL12csrsv_kernelILj1024ELj32ELb0ElidEEvT3_NS_24const_host_device_scalarIT4_EEPKT2_PKS1_PKS3_SB_lPS3_PiS9_iPS1_21rocsparse_index_base_20rocsparse_fill_mode_20rocsparse_diag_type_b.kd
    .uniform_work_group_size: 1
    .uses_dynamic_stack: false
    .vgpr_count:     18
    .vgpr_spill_count: 0
    .wavefront_size: 32
    .workgroup_processor_mode: 1
  - .args:
      - .offset:         0
        .size:           4
        .value_kind:     by_value
      - .offset:         8
        .size:           8
        .value_kind:     by_value
      - .actual_access:  read_only
        .address_space:  global
        .offset:         16
        .size:           8
        .value_kind:     global_buffer
      - .actual_access:  read_only
        .address_space:  global
        .offset:         24
        .size:           8
        .value_kind:     global_buffer
      - .actual_access:  read_only
        .address_space:  global
        .offset:         32
        .size:           8
        .value_kind:     global_buffer
      - .actual_access:  read_only
        .address_space:  global
        .offset:         40
        .size:           8
        .value_kind:     global_buffer
      - .offset:         48
        .size:           8
        .value_kind:     by_value
      - .address_space:  global
        .offset:         56
        .size:           8
        .value_kind:     global_buffer
      - .address_space:  global
        .offset:         64
        .size:           8
        .value_kind:     global_buffer
      - .actual_access:  read_only
        .address_space:  global
        .offset:         72
        .size:           8
        .value_kind:     global_buffer
      - .offset:         80
        .size:           4
        .value_kind:     by_value
      - .address_space:  global
        .offset:         88
        .size:           8
        .value_kind:     global_buffer
      - .offset:         96
        .size:           4
        .value_kind:     by_value
      - .offset:         100
        .size:           4
        .value_kind:     by_value
      - .offset:         104
        .size:           4
        .value_kind:     by_value
      - .offset:         108
        .size:           1
        .value_kind:     by_value
    .group_segment_fixed_size: 128
    .kernarg_segment_align: 8
    .kernarg_segment_size: 112
    .language:       OpenCL C
    .language_version:
      - 2
      - 0
    .max_flat_workgroup_size: 1024
    .name:           _ZN9rocsparseL12csrsv_kernelILj1024ELj64ELb0ElidEEvT3_NS_24const_host_device_scalarIT4_EEPKT2_PKS1_PKS3_SB_lPS3_PiS9_iPS1_21rocsparse_index_base_20rocsparse_fill_mode_20rocsparse_diag_type_b
    .private_segment_fixed_size: 0
    .sgpr_count:     32
    .sgpr_spill_count: 0
    .symbol:         _ZN9rocsparseL12csrsv_kernelILj1024ELj64ELb0ElidEEvT3_NS_24const_host_device_scalarIT4_EEPKT2_PKS1_PKS3_SB_lPS3_PiS9_iPS1_21rocsparse_index_base_20rocsparse_fill_mode_20rocsparse_diag_type_b.kd
    .uniform_work_group_size: 1
    .uses_dynamic_stack: false
    .vgpr_count:     18
    .vgpr_spill_count: 0
    .wavefront_size: 32
    .workgroup_processor_mode: 1
  - .args:
      - .offset:         0
        .size:           4
        .value_kind:     by_value
      - .offset:         8
        .size:           8
        .value_kind:     by_value
      - .actual_access:  read_only
        .address_space:  global
        .offset:         16
        .size:           8
        .value_kind:     global_buffer
      - .actual_access:  read_only
        .address_space:  global
        .offset:         24
        .size:           8
        .value_kind:     global_buffer
      - .actual_access:  read_only
        .address_space:  global
        .offset:         32
        .size:           8
        .value_kind:     global_buffer
      - .actual_access:  read_only
        .address_space:  global
        .offset:         40
        .size:           8
        .value_kind:     global_buffer
      - .offset:         48
        .size:           8
        .value_kind:     by_value
      - .address_space:  global
        .offset:         56
        .size:           8
        .value_kind:     global_buffer
      - .address_space:  global
        .offset:         64
        .size:           8
        .value_kind:     global_buffer
      - .actual_access:  read_only
        .address_space:  global
        .offset:         72
        .size:           8
        .value_kind:     global_buffer
      - .offset:         80
        .size:           4
        .value_kind:     by_value
      - .address_space:  global
        .offset:         88
        .size:           8
        .value_kind:     global_buffer
      - .offset:         96
        .size:           4
        .value_kind:     by_value
      - .offset:         100
        .size:           4
        .value_kind:     by_value
      - .offset:         104
        .size:           4
        .value_kind:     by_value
      - .offset:         108
        .size:           1
        .value_kind:     by_value
    .group_segment_fixed_size: 128
    .kernarg_segment_align: 8
    .kernarg_segment_size: 112
    .language:       OpenCL C
    .language_version:
      - 2
      - 0
    .max_flat_workgroup_size: 1024
    .name:           _ZN9rocsparseL12csrsv_kernelILj1024ELj64ELb1Eli21rocsparse_complex_numIfEEEvT3_NS_24const_host_device_scalarIT4_EEPKT2_PKS3_PKS5_SD_lPS5_PiSB_iPS3_21rocsparse_index_base_20rocsparse_fill_mode_20rocsparse_diag_type_b
    .private_segment_fixed_size: 0
    .sgpr_count:     33
    .sgpr_spill_count: 0
    .symbol:         _ZN9rocsparseL12csrsv_kernelILj1024ELj64ELb1Eli21rocsparse_complex_numIfEEEvT3_NS_24const_host_device_scalarIT4_EEPKT2_PKS3_PKS5_SD_lPS5_PiSB_iPS3_21rocsparse_index_base_20rocsparse_fill_mode_20rocsparse_diag_type_b.kd
    .uniform_work_group_size: 1
    .uses_dynamic_stack: false
    .vgpr_count:     15
    .vgpr_spill_count: 0
    .wavefront_size: 32
    .workgroup_processor_mode: 1
  - .args:
      - .offset:         0
        .size:           4
        .value_kind:     by_value
      - .offset:         8
        .size:           8
        .value_kind:     by_value
      - .actual_access:  read_only
        .address_space:  global
        .offset:         16
        .size:           8
        .value_kind:     global_buffer
      - .actual_access:  read_only
        .address_space:  global
        .offset:         24
        .size:           8
        .value_kind:     global_buffer
      - .actual_access:  read_only
        .address_space:  global
        .offset:         32
        .size:           8
        .value_kind:     global_buffer
      - .actual_access:  read_only
        .address_space:  global
        .offset:         40
        .size:           8
        .value_kind:     global_buffer
      - .offset:         48
        .size:           8
        .value_kind:     by_value
      - .address_space:  global
        .offset:         56
        .size:           8
        .value_kind:     global_buffer
      - .address_space:  global
        .offset:         64
        .size:           8
        .value_kind:     global_buffer
      - .actual_access:  read_only
        .address_space:  global
        .offset:         72
        .size:           8
        .value_kind:     global_buffer
      - .offset:         80
        .size:           4
        .value_kind:     by_value
      - .address_space:  global
        .offset:         88
        .size:           8
        .value_kind:     global_buffer
      - .offset:         96
        .size:           4
        .value_kind:     by_value
      - .offset:         100
        .size:           4
        .value_kind:     by_value
      - .offset:         104
        .size:           4
        .value_kind:     by_value
      - .offset:         108
        .size:           1
        .value_kind:     by_value
    .group_segment_fixed_size: 256
    .kernarg_segment_align: 8
    .kernarg_segment_size: 112
    .language:       OpenCL C
    .language_version:
      - 2
      - 0
    .max_flat_workgroup_size: 1024
    .name:           _ZN9rocsparseL12csrsv_kernelILj1024ELj32ELb0Eli21rocsparse_complex_numIfEEEvT3_NS_24const_host_device_scalarIT4_EEPKT2_PKS3_PKS5_SD_lPS5_PiSB_iPS3_21rocsparse_index_base_20rocsparse_fill_mode_20rocsparse_diag_type_b
    .private_segment_fixed_size: 0
    .sgpr_count:     32
    .sgpr_spill_count: 0
    .symbol:         _ZN9rocsparseL12csrsv_kernelILj1024ELj32ELb0Eli21rocsparse_complex_numIfEEEvT3_NS_24const_host_device_scalarIT4_EEPKT2_PKS3_PKS5_SD_lPS5_PiSB_iPS3_21rocsparse_index_base_20rocsparse_fill_mode_20rocsparse_diag_type_b.kd
    .uniform_work_group_size: 1
    .uses_dynamic_stack: false
    .vgpr_count:     15
    .vgpr_spill_count: 0
    .wavefront_size: 32
    .workgroup_processor_mode: 1
  - .args:
      - .offset:         0
        .size:           4
        .value_kind:     by_value
      - .offset:         8
        .size:           8
        .value_kind:     by_value
      - .actual_access:  read_only
        .address_space:  global
        .offset:         16
        .size:           8
        .value_kind:     global_buffer
      - .actual_access:  read_only
        .address_space:  global
        .offset:         24
        .size:           8
        .value_kind:     global_buffer
      - .actual_access:  read_only
        .address_space:  global
        .offset:         32
        .size:           8
        .value_kind:     global_buffer
      - .actual_access:  read_only
        .address_space:  global
        .offset:         40
        .size:           8
        .value_kind:     global_buffer
      - .offset:         48
        .size:           8
        .value_kind:     by_value
      - .address_space:  global
        .offset:         56
        .size:           8
        .value_kind:     global_buffer
      - .address_space:  global
        .offset:         64
        .size:           8
        .value_kind:     global_buffer
      - .actual_access:  read_only
        .address_space:  global
        .offset:         72
        .size:           8
        .value_kind:     global_buffer
      - .offset:         80
        .size:           4
        .value_kind:     by_value
      - .address_space:  global
        .offset:         88
        .size:           8
        .value_kind:     global_buffer
      - .offset:         96
        .size:           4
        .value_kind:     by_value
      - .offset:         100
        .size:           4
        .value_kind:     by_value
      - .offset:         104
        .size:           4
        .value_kind:     by_value
      - .offset:         108
        .size:           1
        .value_kind:     by_value
    .group_segment_fixed_size: 128
    .kernarg_segment_align: 8
    .kernarg_segment_size: 112
    .language:       OpenCL C
    .language_version:
      - 2
      - 0
    .max_flat_workgroup_size: 1024
    .name:           _ZN9rocsparseL12csrsv_kernelILj1024ELj64ELb0Eli21rocsparse_complex_numIfEEEvT3_NS_24const_host_device_scalarIT4_EEPKT2_PKS3_PKS5_SD_lPS5_PiSB_iPS3_21rocsparse_index_base_20rocsparse_fill_mode_20rocsparse_diag_type_b
    .private_segment_fixed_size: 0
    .sgpr_count:     32
    .sgpr_spill_count: 0
    .symbol:         _ZN9rocsparseL12csrsv_kernelILj1024ELj64ELb0Eli21rocsparse_complex_numIfEEEvT3_NS_24const_host_device_scalarIT4_EEPKT2_PKS3_PKS5_SD_lPS5_PiSB_iPS3_21rocsparse_index_base_20rocsparse_fill_mode_20rocsparse_diag_type_b.kd
    .uniform_work_group_size: 1
    .uses_dynamic_stack: false
    .vgpr_count:     15
    .vgpr_spill_count: 0
    .wavefront_size: 32
    .workgroup_processor_mode: 1
  - .args:
      - .offset:         0
        .size:           4
        .value_kind:     by_value
      - .offset:         8
        .size:           16
        .value_kind:     by_value
      - .actual_access:  read_only
        .address_space:  global
        .offset:         24
        .size:           8
        .value_kind:     global_buffer
      - .actual_access:  read_only
        .address_space:  global
        .offset:         32
        .size:           8
        .value_kind:     global_buffer
      - .actual_access:  read_only
        .address_space:  global
        .offset:         40
        .size:           8
        .value_kind:     global_buffer
      - .actual_access:  read_only
        .address_space:  global
        .offset:         48
        .size:           8
        .value_kind:     global_buffer
      - .offset:         56
        .size:           8
        .value_kind:     by_value
      - .address_space:  global
        .offset:         64
        .size:           8
        .value_kind:     global_buffer
      - .address_space:  global
        .offset:         72
        .size:           8
        .value_kind:     global_buffer
      - .actual_access:  read_only
        .address_space:  global
        .offset:         80
        .size:           8
        .value_kind:     global_buffer
      - .offset:         88
        .size:           4
        .value_kind:     by_value
      - .address_space:  global
        .offset:         96
        .size:           8
        .value_kind:     global_buffer
      - .offset:         104
        .size:           4
        .value_kind:     by_value
      - .offset:         108
        .size:           4
        .value_kind:     by_value
      - .offset:         112
        .size:           4
        .value_kind:     by_value
      - .offset:         116
        .size:           1
        .value_kind:     by_value
    .group_segment_fixed_size: 256
    .kernarg_segment_align: 8
    .kernarg_segment_size: 120
    .language:       OpenCL C
    .language_version:
      - 2
      - 0
    .max_flat_workgroup_size: 1024
    .name:           _ZN9rocsparseL12csrsv_kernelILj1024ELj64ELb1Eli21rocsparse_complex_numIdEEEvT3_NS_24const_host_device_scalarIT4_EEPKT2_PKS3_PKS5_SD_lPS5_PiSB_iPS3_21rocsparse_index_base_20rocsparse_fill_mode_20rocsparse_diag_type_b
    .private_segment_fixed_size: 16
    .sgpr_count:     36
    .sgpr_spill_count: 0
    .symbol:         _ZN9rocsparseL12csrsv_kernelILj1024ELj64ELb1Eli21rocsparse_complex_numIdEEEvT3_NS_24const_host_device_scalarIT4_EEPKT2_PKS3_PKS5_SD_lPS5_PiSB_iPS3_21rocsparse_index_base_20rocsparse_fill_mode_20rocsparse_diag_type_b.kd
    .uniform_work_group_size: 1
    .uses_dynamic_stack: false
    .vgpr_count:     23
    .vgpr_spill_count: 0
    .wavefront_size: 32
    .workgroup_processor_mode: 1
  - .args:
      - .offset:         0
        .size:           4
        .value_kind:     by_value
      - .offset:         8
        .size:           16
        .value_kind:     by_value
      - .actual_access:  read_only
        .address_space:  global
        .offset:         24
        .size:           8
        .value_kind:     global_buffer
      - .actual_access:  read_only
        .address_space:  global
        .offset:         32
        .size:           8
        .value_kind:     global_buffer
      - .actual_access:  read_only
        .address_space:  global
        .offset:         40
        .size:           8
        .value_kind:     global_buffer
      - .actual_access:  read_only
        .address_space:  global
        .offset:         48
        .size:           8
        .value_kind:     global_buffer
      - .offset:         56
        .size:           8
        .value_kind:     by_value
      - .address_space:  global
        .offset:         64
        .size:           8
        .value_kind:     global_buffer
      - .address_space:  global
        .offset:         72
        .size:           8
        .value_kind:     global_buffer
      - .actual_access:  read_only
        .address_space:  global
        .offset:         80
        .size:           8
        .value_kind:     global_buffer
      - .offset:         88
        .size:           4
        .value_kind:     by_value
      - .address_space:  global
        .offset:         96
        .size:           8
        .value_kind:     global_buffer
      - .offset:         104
        .size:           4
        .value_kind:     by_value
      - .offset:         108
        .size:           4
        .value_kind:     by_value
      - .offset:         112
        .size:           4
        .value_kind:     by_value
      - .offset:         116
        .size:           1
        .value_kind:     by_value
    .group_segment_fixed_size: 512
    .kernarg_segment_align: 8
    .kernarg_segment_size: 120
    .language:       OpenCL C
    .language_version:
      - 2
      - 0
    .max_flat_workgroup_size: 1024
    .name:           _ZN9rocsparseL12csrsv_kernelILj1024ELj32ELb0Eli21rocsparse_complex_numIdEEEvT3_NS_24const_host_device_scalarIT4_EEPKT2_PKS3_PKS5_SD_lPS5_PiSB_iPS3_21rocsparse_index_base_20rocsparse_fill_mode_20rocsparse_diag_type_b
    .private_segment_fixed_size: 16
    .sgpr_count:     34
    .sgpr_spill_count: 0
    .symbol:         _ZN9rocsparseL12csrsv_kernelILj1024ELj32ELb0Eli21rocsparse_complex_numIdEEEvT3_NS_24const_host_device_scalarIT4_EEPKT2_PKS3_PKS5_SD_lPS5_PiSB_iPS3_21rocsparse_index_base_20rocsparse_fill_mode_20rocsparse_diag_type_b.kd
    .uniform_work_group_size: 1
    .uses_dynamic_stack: false
    .vgpr_count:     23
    .vgpr_spill_count: 0
    .wavefront_size: 32
    .workgroup_processor_mode: 1
  - .args:
      - .offset:         0
        .size:           4
        .value_kind:     by_value
      - .offset:         8
        .size:           16
        .value_kind:     by_value
      - .actual_access:  read_only
        .address_space:  global
        .offset:         24
        .size:           8
        .value_kind:     global_buffer
      - .actual_access:  read_only
        .address_space:  global
        .offset:         32
        .size:           8
        .value_kind:     global_buffer
      - .actual_access:  read_only
        .address_space:  global
        .offset:         40
        .size:           8
        .value_kind:     global_buffer
      - .actual_access:  read_only
        .address_space:  global
        .offset:         48
        .size:           8
        .value_kind:     global_buffer
      - .offset:         56
        .size:           8
        .value_kind:     by_value
      - .address_space:  global
        .offset:         64
        .size:           8
        .value_kind:     global_buffer
      - .address_space:  global
        .offset:         72
        .size:           8
        .value_kind:     global_buffer
      - .actual_access:  read_only
        .address_space:  global
        .offset:         80
        .size:           8
        .value_kind:     global_buffer
      - .offset:         88
        .size:           4
        .value_kind:     by_value
      - .address_space:  global
        .offset:         96
        .size:           8
        .value_kind:     global_buffer
      - .offset:         104
        .size:           4
        .value_kind:     by_value
      - .offset:         108
        .size:           4
        .value_kind:     by_value
      - .offset:         112
        .size:           4
        .value_kind:     by_value
      - .offset:         116
        .size:           1
        .value_kind:     by_value
    .group_segment_fixed_size: 256
    .kernarg_segment_align: 8
    .kernarg_segment_size: 120
    .language:       OpenCL C
    .language_version:
      - 2
      - 0
    .max_flat_workgroup_size: 1024
    .name:           _ZN9rocsparseL12csrsv_kernelILj1024ELj64ELb0Eli21rocsparse_complex_numIdEEEvT3_NS_24const_host_device_scalarIT4_EEPKT2_PKS3_PKS5_SD_lPS5_PiSB_iPS3_21rocsparse_index_base_20rocsparse_fill_mode_20rocsparse_diag_type_b
    .private_segment_fixed_size: 16
    .sgpr_count:     34
    .sgpr_spill_count: 0
    .symbol:         _ZN9rocsparseL12csrsv_kernelILj1024ELj64ELb0Eli21rocsparse_complex_numIdEEEvT3_NS_24const_host_device_scalarIT4_EEPKT2_PKS3_PKS5_SD_lPS5_PiSB_iPS3_21rocsparse_index_base_20rocsparse_fill_mode_20rocsparse_diag_type_b.kd
    .uniform_work_group_size: 1
    .uses_dynamic_stack: false
    .vgpr_count:     23
    .vgpr_spill_count: 0
    .wavefront_size: 32
    .workgroup_processor_mode: 1
  - .args:
      - .offset:         0
        .size:           8
        .value_kind:     by_value
      - .offset:         8
        .size:           8
        .value_kind:     by_value
      - .actual_access:  read_only
        .address_space:  global
        .offset:         16
        .size:           8
        .value_kind:     global_buffer
      - .actual_access:  read_only
        .address_space:  global
        .offset:         24
        .size:           8
        .value_kind:     global_buffer
      - .actual_access:  read_only
        .address_space:  global
        .offset:         32
        .size:           8
        .value_kind:     global_buffer
      - .actual_access:  read_only
        .address_space:  global
        .offset:         40
        .size:           8
        .value_kind:     global_buffer
      - .offset:         48
        .size:           8
        .value_kind:     by_value
      - .address_space:  global
        .offset:         56
        .size:           8
        .value_kind:     global_buffer
      - .address_space:  global
        .offset:         64
        .size:           8
        .value_kind:     global_buffer
      - .actual_access:  read_only
        .address_space:  global
        .offset:         72
        .size:           8
        .value_kind:     global_buffer
      - .offset:         80
        .size:           4
        .value_kind:     by_value
      - .address_space:  global
        .offset:         88
        .size:           8
        .value_kind:     global_buffer
      - .offset:         96
        .size:           4
        .value_kind:     by_value
      - .offset:         100
        .size:           4
        .value_kind:     by_value
      - .offset:         104
        .size:           4
        .value_kind:     by_value
      - .offset:         108
        .size:           1
        .value_kind:     by_value
    .group_segment_fixed_size: 64
    .kernarg_segment_align: 8
    .kernarg_segment_size: 112
    .language:       OpenCL C
    .language_version:
      - 2
      - 0
    .max_flat_workgroup_size: 1024
    .name:           _ZN9rocsparseL12csrsv_kernelILj1024ELj64ELb1EllfEEvT3_NS_24const_host_device_scalarIT4_EEPKT2_PKS1_PKS3_SB_lPS3_PiS9_iPS1_21rocsparse_index_base_20rocsparse_fill_mode_20rocsparse_diag_type_b
    .private_segment_fixed_size: 0
    .sgpr_count:     32
    .sgpr_spill_count: 0
    .symbol:         _ZN9rocsparseL12csrsv_kernelILj1024ELj64ELb1EllfEEvT3_NS_24const_host_device_scalarIT4_EEPKT2_PKS1_PKS3_SB_lPS3_PiS9_iPS1_21rocsparse_index_base_20rocsparse_fill_mode_20rocsparse_diag_type_b.kd
    .uniform_work_group_size: 1
    .uses_dynamic_stack: false
    .vgpr_count:     13
    .vgpr_spill_count: 0
    .wavefront_size: 32
    .workgroup_processor_mode: 1
  - .args:
      - .offset:         0
        .size:           8
        .value_kind:     by_value
      - .offset:         8
        .size:           8
        .value_kind:     by_value
      - .actual_access:  read_only
        .address_space:  global
        .offset:         16
        .size:           8
        .value_kind:     global_buffer
      - .actual_access:  read_only
        .address_space:  global
        .offset:         24
        .size:           8
        .value_kind:     global_buffer
      - .actual_access:  read_only
        .address_space:  global
        .offset:         32
        .size:           8
        .value_kind:     global_buffer
      - .actual_access:  read_only
        .address_space:  global
        .offset:         40
        .size:           8
        .value_kind:     global_buffer
      - .offset:         48
        .size:           8
        .value_kind:     by_value
      - .address_space:  global
        .offset:         56
        .size:           8
        .value_kind:     global_buffer
      - .address_space:  global
        .offset:         64
        .size:           8
        .value_kind:     global_buffer
      - .actual_access:  read_only
        .address_space:  global
        .offset:         72
        .size:           8
        .value_kind:     global_buffer
      - .offset:         80
        .size:           4
        .value_kind:     by_value
      - .address_space:  global
        .offset:         88
        .size:           8
        .value_kind:     global_buffer
      - .offset:         96
        .size:           4
        .value_kind:     by_value
      - .offset:         100
        .size:           4
        .value_kind:     by_value
      - .offset:         104
        .size:           4
        .value_kind:     by_value
      - .offset:         108
        .size:           1
        .value_kind:     by_value
    .group_segment_fixed_size: 128
    .kernarg_segment_align: 8
    .kernarg_segment_size: 112
    .language:       OpenCL C
    .language_version:
      - 2
      - 0
    .max_flat_workgroup_size: 1024
    .name:           _ZN9rocsparseL12csrsv_kernelILj1024ELj32ELb0EllfEEvT3_NS_24const_host_device_scalarIT4_EEPKT2_PKS1_PKS3_SB_lPS3_PiS9_iPS1_21rocsparse_index_base_20rocsparse_fill_mode_20rocsparse_diag_type_b
    .private_segment_fixed_size: 0
    .sgpr_count:     31
    .sgpr_spill_count: 0
    .symbol:         _ZN9rocsparseL12csrsv_kernelILj1024ELj32ELb0EllfEEvT3_NS_24const_host_device_scalarIT4_EEPKT2_PKS1_PKS3_SB_lPS3_PiS9_iPS1_21rocsparse_index_base_20rocsparse_fill_mode_20rocsparse_diag_type_b.kd
    .uniform_work_group_size: 1
    .uses_dynamic_stack: false
    .vgpr_count:     13
    .vgpr_spill_count: 0
    .wavefront_size: 32
    .workgroup_processor_mode: 1
  - .args:
      - .offset:         0
        .size:           8
        .value_kind:     by_value
      - .offset:         8
        .size:           8
        .value_kind:     by_value
      - .actual_access:  read_only
        .address_space:  global
        .offset:         16
        .size:           8
        .value_kind:     global_buffer
      - .actual_access:  read_only
        .address_space:  global
        .offset:         24
        .size:           8
        .value_kind:     global_buffer
      - .actual_access:  read_only
        .address_space:  global
        .offset:         32
        .size:           8
        .value_kind:     global_buffer
      - .actual_access:  read_only
        .address_space:  global
        .offset:         40
        .size:           8
        .value_kind:     global_buffer
      - .offset:         48
        .size:           8
        .value_kind:     by_value
      - .address_space:  global
        .offset:         56
        .size:           8
        .value_kind:     global_buffer
      - .address_space:  global
        .offset:         64
        .size:           8
        .value_kind:     global_buffer
      - .actual_access:  read_only
        .address_space:  global
        .offset:         72
        .size:           8
        .value_kind:     global_buffer
      - .offset:         80
        .size:           4
        .value_kind:     by_value
      - .address_space:  global
        .offset:         88
        .size:           8
        .value_kind:     global_buffer
      - .offset:         96
        .size:           4
        .value_kind:     by_value
      - .offset:         100
        .size:           4
        .value_kind:     by_value
      - .offset:         104
        .size:           4
        .value_kind:     by_value
      - .offset:         108
        .size:           1
        .value_kind:     by_value
    .group_segment_fixed_size: 64
    .kernarg_segment_align: 8
    .kernarg_segment_size: 112
    .language:       OpenCL C
    .language_version:
      - 2
      - 0
    .max_flat_workgroup_size: 1024
    .name:           _ZN9rocsparseL12csrsv_kernelILj1024ELj64ELb0EllfEEvT3_NS_24const_host_device_scalarIT4_EEPKT2_PKS1_PKS3_SB_lPS3_PiS9_iPS1_21rocsparse_index_base_20rocsparse_fill_mode_20rocsparse_diag_type_b
    .private_segment_fixed_size: 0
    .sgpr_count:     31
    .sgpr_spill_count: 0
    .symbol:         _ZN9rocsparseL12csrsv_kernelILj1024ELj64ELb0EllfEEvT3_NS_24const_host_device_scalarIT4_EEPKT2_PKS1_PKS3_SB_lPS3_PiS9_iPS1_21rocsparse_index_base_20rocsparse_fill_mode_20rocsparse_diag_type_b.kd
    .uniform_work_group_size: 1
    .uses_dynamic_stack: false
    .vgpr_count:     13
    .vgpr_spill_count: 0
    .wavefront_size: 32
    .workgroup_processor_mode: 1
  - .args:
      - .offset:         0
        .size:           8
        .value_kind:     by_value
      - .offset:         8
        .size:           8
        .value_kind:     by_value
      - .actual_access:  read_only
        .address_space:  global
        .offset:         16
        .size:           8
        .value_kind:     global_buffer
      - .actual_access:  read_only
        .address_space:  global
        .offset:         24
        .size:           8
        .value_kind:     global_buffer
      - .actual_access:  read_only
        .address_space:  global
        .offset:         32
        .size:           8
        .value_kind:     global_buffer
      - .actual_access:  read_only
        .address_space:  global
        .offset:         40
        .size:           8
        .value_kind:     global_buffer
      - .offset:         48
        .size:           8
        .value_kind:     by_value
      - .address_space:  global
        .offset:         56
        .size:           8
        .value_kind:     global_buffer
      - .address_space:  global
        .offset:         64
        .size:           8
        .value_kind:     global_buffer
      - .actual_access:  read_only
        .address_space:  global
        .offset:         72
        .size:           8
        .value_kind:     global_buffer
      - .offset:         80
        .size:           4
        .value_kind:     by_value
      - .address_space:  global
        .offset:         88
        .size:           8
        .value_kind:     global_buffer
      - .offset:         96
        .size:           4
        .value_kind:     by_value
      - .offset:         100
        .size:           4
        .value_kind:     by_value
      - .offset:         104
        .size:           4
        .value_kind:     by_value
      - .offset:         108
        .size:           1
        .value_kind:     by_value
    .group_segment_fixed_size: 128
    .kernarg_segment_align: 8
    .kernarg_segment_size: 112
    .language:       OpenCL C
    .language_version:
      - 2
      - 0
    .max_flat_workgroup_size: 1024
    .name:           _ZN9rocsparseL12csrsv_kernelILj1024ELj64ELb1ElldEEvT3_NS_24const_host_device_scalarIT4_EEPKT2_PKS1_PKS3_SB_lPS3_PiS9_iPS1_21rocsparse_index_base_20rocsparse_fill_mode_20rocsparse_diag_type_b
    .private_segment_fixed_size: 0
    .sgpr_count:     34
    .sgpr_spill_count: 0
    .symbol:         _ZN9rocsparseL12csrsv_kernelILj1024ELj64ELb1ElldEEvT3_NS_24const_host_device_scalarIT4_EEPKT2_PKS1_PKS3_SB_lPS3_PiS9_iPS1_21rocsparse_index_base_20rocsparse_fill_mode_20rocsparse_diag_type_b.kd
    .uniform_work_group_size: 1
    .uses_dynamic_stack: false
    .vgpr_count:     18
    .vgpr_spill_count: 0
    .wavefront_size: 32
    .workgroup_processor_mode: 1
  - .args:
      - .offset:         0
        .size:           8
        .value_kind:     by_value
      - .offset:         8
        .size:           8
        .value_kind:     by_value
      - .actual_access:  read_only
        .address_space:  global
        .offset:         16
        .size:           8
        .value_kind:     global_buffer
      - .actual_access:  read_only
        .address_space:  global
        .offset:         24
        .size:           8
        .value_kind:     global_buffer
      - .actual_access:  read_only
        .address_space:  global
        .offset:         32
        .size:           8
        .value_kind:     global_buffer
      - .actual_access:  read_only
        .address_space:  global
        .offset:         40
        .size:           8
        .value_kind:     global_buffer
      - .offset:         48
        .size:           8
        .value_kind:     by_value
      - .address_space:  global
        .offset:         56
        .size:           8
        .value_kind:     global_buffer
      - .address_space:  global
        .offset:         64
        .size:           8
        .value_kind:     global_buffer
      - .actual_access:  read_only
        .address_space:  global
        .offset:         72
        .size:           8
        .value_kind:     global_buffer
      - .offset:         80
        .size:           4
        .value_kind:     by_value
      - .address_space:  global
        .offset:         88
        .size:           8
        .value_kind:     global_buffer
      - .offset:         96
        .size:           4
        .value_kind:     by_value
      - .offset:         100
        .size:           4
        .value_kind:     by_value
      - .offset:         104
        .size:           4
        .value_kind:     by_value
      - .offset:         108
        .size:           1
        .value_kind:     by_value
    .group_segment_fixed_size: 256
    .kernarg_segment_align: 8
    .kernarg_segment_size: 112
    .language:       OpenCL C
    .language_version:
      - 2
      - 0
    .max_flat_workgroup_size: 1024
    .name:           _ZN9rocsparseL12csrsv_kernelILj1024ELj32ELb0ElldEEvT3_NS_24const_host_device_scalarIT4_EEPKT2_PKS1_PKS3_SB_lPS3_PiS9_iPS1_21rocsparse_index_base_20rocsparse_fill_mode_20rocsparse_diag_type_b
    .private_segment_fixed_size: 0
    .sgpr_count:     33
    .sgpr_spill_count: 0
    .symbol:         _ZN9rocsparseL12csrsv_kernelILj1024ELj32ELb0ElldEEvT3_NS_24const_host_device_scalarIT4_EEPKT2_PKS1_PKS3_SB_lPS3_PiS9_iPS1_21rocsparse_index_base_20rocsparse_fill_mode_20rocsparse_diag_type_b.kd
    .uniform_work_group_size: 1
    .uses_dynamic_stack: false
    .vgpr_count:     18
    .vgpr_spill_count: 0
    .wavefront_size: 32
    .workgroup_processor_mode: 1
  - .args:
      - .offset:         0
        .size:           8
        .value_kind:     by_value
      - .offset:         8
        .size:           8
        .value_kind:     by_value
      - .actual_access:  read_only
        .address_space:  global
        .offset:         16
        .size:           8
        .value_kind:     global_buffer
      - .actual_access:  read_only
        .address_space:  global
        .offset:         24
        .size:           8
        .value_kind:     global_buffer
      - .actual_access:  read_only
        .address_space:  global
        .offset:         32
        .size:           8
        .value_kind:     global_buffer
      - .actual_access:  read_only
        .address_space:  global
        .offset:         40
        .size:           8
        .value_kind:     global_buffer
      - .offset:         48
        .size:           8
        .value_kind:     by_value
      - .address_space:  global
        .offset:         56
        .size:           8
        .value_kind:     global_buffer
      - .address_space:  global
        .offset:         64
        .size:           8
        .value_kind:     global_buffer
      - .actual_access:  read_only
        .address_space:  global
        .offset:         72
        .size:           8
        .value_kind:     global_buffer
      - .offset:         80
        .size:           4
        .value_kind:     by_value
      - .address_space:  global
        .offset:         88
        .size:           8
        .value_kind:     global_buffer
      - .offset:         96
        .size:           4
        .value_kind:     by_value
      - .offset:         100
        .size:           4
        .value_kind:     by_value
      - .offset:         104
        .size:           4
        .value_kind:     by_value
      - .offset:         108
        .size:           1
        .value_kind:     by_value
    .group_segment_fixed_size: 128
    .kernarg_segment_align: 8
    .kernarg_segment_size: 112
    .language:       OpenCL C
    .language_version:
      - 2
      - 0
    .max_flat_workgroup_size: 1024
    .name:           _ZN9rocsparseL12csrsv_kernelILj1024ELj64ELb0ElldEEvT3_NS_24const_host_device_scalarIT4_EEPKT2_PKS1_PKS3_SB_lPS3_PiS9_iPS1_21rocsparse_index_base_20rocsparse_fill_mode_20rocsparse_diag_type_b
    .private_segment_fixed_size: 0
    .sgpr_count:     33
    .sgpr_spill_count: 0
    .symbol:         _ZN9rocsparseL12csrsv_kernelILj1024ELj64ELb0ElldEEvT3_NS_24const_host_device_scalarIT4_EEPKT2_PKS1_PKS3_SB_lPS3_PiS9_iPS1_21rocsparse_index_base_20rocsparse_fill_mode_20rocsparse_diag_type_b.kd
    .uniform_work_group_size: 1
    .uses_dynamic_stack: false
    .vgpr_count:     18
    .vgpr_spill_count: 0
    .wavefront_size: 32
    .workgroup_processor_mode: 1
  - .args:
      - .offset:         0
        .size:           8
        .value_kind:     by_value
      - .offset:         8
        .size:           8
        .value_kind:     by_value
      - .actual_access:  read_only
        .address_space:  global
        .offset:         16
        .size:           8
        .value_kind:     global_buffer
      - .actual_access:  read_only
        .address_space:  global
        .offset:         24
        .size:           8
        .value_kind:     global_buffer
      - .actual_access:  read_only
        .address_space:  global
        .offset:         32
        .size:           8
        .value_kind:     global_buffer
      - .actual_access:  read_only
        .address_space:  global
        .offset:         40
        .size:           8
        .value_kind:     global_buffer
      - .offset:         48
        .size:           8
        .value_kind:     by_value
      - .address_space:  global
        .offset:         56
        .size:           8
        .value_kind:     global_buffer
      - .address_space:  global
        .offset:         64
        .size:           8
        .value_kind:     global_buffer
      - .actual_access:  read_only
        .address_space:  global
        .offset:         72
        .size:           8
        .value_kind:     global_buffer
      - .offset:         80
        .size:           4
        .value_kind:     by_value
      - .address_space:  global
        .offset:         88
        .size:           8
        .value_kind:     global_buffer
      - .offset:         96
        .size:           4
        .value_kind:     by_value
      - .offset:         100
        .size:           4
        .value_kind:     by_value
      - .offset:         104
        .size:           4
        .value_kind:     by_value
      - .offset:         108
        .size:           1
        .value_kind:     by_value
    .group_segment_fixed_size: 128
    .kernarg_segment_align: 8
    .kernarg_segment_size: 112
    .language:       OpenCL C
    .language_version:
      - 2
      - 0
    .max_flat_workgroup_size: 1024
    .name:           _ZN9rocsparseL12csrsv_kernelILj1024ELj64ELb1Ell21rocsparse_complex_numIfEEEvT3_NS_24const_host_device_scalarIT4_EEPKT2_PKS3_PKS5_SD_lPS5_PiSB_iPS3_21rocsparse_index_base_20rocsparse_fill_mode_20rocsparse_diag_type_b
    .private_segment_fixed_size: 0
    .sgpr_count:     34
    .sgpr_spill_count: 0
    .symbol:         _ZN9rocsparseL12csrsv_kernelILj1024ELj64ELb1Ell21rocsparse_complex_numIfEEEvT3_NS_24const_host_device_scalarIT4_EEPKT2_PKS3_PKS5_SD_lPS5_PiSB_iPS3_21rocsparse_index_base_20rocsparse_fill_mode_20rocsparse_diag_type_b.kd
    .uniform_work_group_size: 1
    .uses_dynamic_stack: false
    .vgpr_count:     16
    .vgpr_spill_count: 0
    .wavefront_size: 32
    .workgroup_processor_mode: 1
  - .args:
      - .offset:         0
        .size:           8
        .value_kind:     by_value
      - .offset:         8
        .size:           8
        .value_kind:     by_value
      - .actual_access:  read_only
        .address_space:  global
        .offset:         16
        .size:           8
        .value_kind:     global_buffer
      - .actual_access:  read_only
        .address_space:  global
        .offset:         24
        .size:           8
        .value_kind:     global_buffer
      - .actual_access:  read_only
        .address_space:  global
        .offset:         32
        .size:           8
        .value_kind:     global_buffer
      - .actual_access:  read_only
        .address_space:  global
        .offset:         40
        .size:           8
        .value_kind:     global_buffer
      - .offset:         48
        .size:           8
        .value_kind:     by_value
      - .address_space:  global
        .offset:         56
        .size:           8
        .value_kind:     global_buffer
      - .address_space:  global
        .offset:         64
        .size:           8
        .value_kind:     global_buffer
      - .actual_access:  read_only
        .address_space:  global
        .offset:         72
        .size:           8
        .value_kind:     global_buffer
      - .offset:         80
        .size:           4
        .value_kind:     by_value
      - .address_space:  global
        .offset:         88
        .size:           8
        .value_kind:     global_buffer
      - .offset:         96
        .size:           4
        .value_kind:     by_value
      - .offset:         100
        .size:           4
        .value_kind:     by_value
      - .offset:         104
        .size:           4
        .value_kind:     by_value
      - .offset:         108
        .size:           1
        .value_kind:     by_value
    .group_segment_fixed_size: 256
    .kernarg_segment_align: 8
    .kernarg_segment_size: 112
    .language:       OpenCL C
    .language_version:
      - 2
      - 0
    .max_flat_workgroup_size: 1024
    .name:           _ZN9rocsparseL12csrsv_kernelILj1024ELj32ELb0Ell21rocsparse_complex_numIfEEEvT3_NS_24const_host_device_scalarIT4_EEPKT2_PKS3_PKS5_SD_lPS5_PiSB_iPS3_21rocsparse_index_base_20rocsparse_fill_mode_20rocsparse_diag_type_b
    .private_segment_fixed_size: 0
    .sgpr_count:     34
    .sgpr_spill_count: 0
    .symbol:         _ZN9rocsparseL12csrsv_kernelILj1024ELj32ELb0Ell21rocsparse_complex_numIfEEEvT3_NS_24const_host_device_scalarIT4_EEPKT2_PKS3_PKS5_SD_lPS5_PiSB_iPS3_21rocsparse_index_base_20rocsparse_fill_mode_20rocsparse_diag_type_b.kd
    .uniform_work_group_size: 1
    .uses_dynamic_stack: false
    .vgpr_count:     16
    .vgpr_spill_count: 0
    .wavefront_size: 32
    .workgroup_processor_mode: 1
  - .args:
      - .offset:         0
        .size:           8
        .value_kind:     by_value
      - .offset:         8
        .size:           8
        .value_kind:     by_value
      - .actual_access:  read_only
        .address_space:  global
        .offset:         16
        .size:           8
        .value_kind:     global_buffer
      - .actual_access:  read_only
        .address_space:  global
        .offset:         24
        .size:           8
        .value_kind:     global_buffer
      - .actual_access:  read_only
        .address_space:  global
        .offset:         32
        .size:           8
        .value_kind:     global_buffer
      - .actual_access:  read_only
        .address_space:  global
        .offset:         40
        .size:           8
        .value_kind:     global_buffer
      - .offset:         48
        .size:           8
        .value_kind:     by_value
      - .address_space:  global
        .offset:         56
        .size:           8
        .value_kind:     global_buffer
      - .address_space:  global
        .offset:         64
        .size:           8
        .value_kind:     global_buffer
      - .actual_access:  read_only
        .address_space:  global
        .offset:         72
        .size:           8
        .value_kind:     global_buffer
      - .offset:         80
        .size:           4
        .value_kind:     by_value
      - .address_space:  global
        .offset:         88
        .size:           8
        .value_kind:     global_buffer
      - .offset:         96
        .size:           4
        .value_kind:     by_value
      - .offset:         100
        .size:           4
        .value_kind:     by_value
      - .offset:         104
        .size:           4
        .value_kind:     by_value
      - .offset:         108
        .size:           1
        .value_kind:     by_value
    .group_segment_fixed_size: 128
    .kernarg_segment_align: 8
    .kernarg_segment_size: 112
    .language:       OpenCL C
    .language_version:
      - 2
      - 0
    .max_flat_workgroup_size: 1024
    .name:           _ZN9rocsparseL12csrsv_kernelILj1024ELj64ELb0Ell21rocsparse_complex_numIfEEEvT3_NS_24const_host_device_scalarIT4_EEPKT2_PKS3_PKS5_SD_lPS5_PiSB_iPS3_21rocsparse_index_base_20rocsparse_fill_mode_20rocsparse_diag_type_b
    .private_segment_fixed_size: 0
    .sgpr_count:     34
    .sgpr_spill_count: 0
    .symbol:         _ZN9rocsparseL12csrsv_kernelILj1024ELj64ELb0Ell21rocsparse_complex_numIfEEEvT3_NS_24const_host_device_scalarIT4_EEPKT2_PKS3_PKS5_SD_lPS5_PiSB_iPS3_21rocsparse_index_base_20rocsparse_fill_mode_20rocsparse_diag_type_b.kd
    .uniform_work_group_size: 1
    .uses_dynamic_stack: false
    .vgpr_count:     16
    .vgpr_spill_count: 0
    .wavefront_size: 32
    .workgroup_processor_mode: 1
  - .args:
      - .offset:         0
        .size:           8
        .value_kind:     by_value
      - .offset:         8
        .size:           16
        .value_kind:     by_value
      - .actual_access:  read_only
        .address_space:  global
        .offset:         24
        .size:           8
        .value_kind:     global_buffer
      - .actual_access:  read_only
        .address_space:  global
        .offset:         32
        .size:           8
        .value_kind:     global_buffer
      - .actual_access:  read_only
        .address_space:  global
        .offset:         40
        .size:           8
        .value_kind:     global_buffer
      - .actual_access:  read_only
        .address_space:  global
        .offset:         48
        .size:           8
        .value_kind:     global_buffer
      - .offset:         56
        .size:           8
        .value_kind:     by_value
      - .address_space:  global
        .offset:         64
        .size:           8
        .value_kind:     global_buffer
      - .address_space:  global
        .offset:         72
        .size:           8
        .value_kind:     global_buffer
      - .actual_access:  read_only
        .address_space:  global
        .offset:         80
        .size:           8
        .value_kind:     global_buffer
      - .offset:         88
        .size:           4
        .value_kind:     by_value
      - .address_space:  global
        .offset:         96
        .size:           8
        .value_kind:     global_buffer
      - .offset:         104
        .size:           4
        .value_kind:     by_value
      - .offset:         108
        .size:           4
        .value_kind:     by_value
      - .offset:         112
        .size:           4
        .value_kind:     by_value
      - .offset:         116
        .size:           1
        .value_kind:     by_value
    .group_segment_fixed_size: 256
    .kernarg_segment_align: 8
    .kernarg_segment_size: 120
    .language:       OpenCL C
    .language_version:
      - 2
      - 0
    .max_flat_workgroup_size: 1024
    .name:           _ZN9rocsparseL12csrsv_kernelILj1024ELj64ELb1Ell21rocsparse_complex_numIdEEEvT3_NS_24const_host_device_scalarIT4_EEPKT2_PKS3_PKS5_SD_lPS5_PiSB_iPS3_21rocsparse_index_base_20rocsparse_fill_mode_20rocsparse_diag_type_b
    .private_segment_fixed_size: 16
    .sgpr_count:     37
    .sgpr_spill_count: 0
    .symbol:         _ZN9rocsparseL12csrsv_kernelILj1024ELj64ELb1Ell21rocsparse_complex_numIdEEEvT3_NS_24const_host_device_scalarIT4_EEPKT2_PKS3_PKS5_SD_lPS5_PiSB_iPS3_21rocsparse_index_base_20rocsparse_fill_mode_20rocsparse_diag_type_b.kd
    .uniform_work_group_size: 1
    .uses_dynamic_stack: false
    .vgpr_count:     24
    .vgpr_spill_count: 0
    .wavefront_size: 32
    .workgroup_processor_mode: 1
  - .args:
      - .offset:         0
        .size:           8
        .value_kind:     by_value
      - .offset:         8
        .size:           16
        .value_kind:     by_value
      - .actual_access:  read_only
        .address_space:  global
        .offset:         24
        .size:           8
        .value_kind:     global_buffer
      - .actual_access:  read_only
        .address_space:  global
        .offset:         32
        .size:           8
        .value_kind:     global_buffer
      - .actual_access:  read_only
        .address_space:  global
        .offset:         40
        .size:           8
        .value_kind:     global_buffer
      - .actual_access:  read_only
        .address_space:  global
        .offset:         48
        .size:           8
        .value_kind:     global_buffer
      - .offset:         56
        .size:           8
        .value_kind:     by_value
      - .address_space:  global
        .offset:         64
        .size:           8
        .value_kind:     global_buffer
      - .address_space:  global
        .offset:         72
        .size:           8
        .value_kind:     global_buffer
      - .actual_access:  read_only
        .address_space:  global
        .offset:         80
        .size:           8
        .value_kind:     global_buffer
      - .offset:         88
        .size:           4
        .value_kind:     by_value
      - .address_space:  global
        .offset:         96
        .size:           8
        .value_kind:     global_buffer
      - .offset:         104
        .size:           4
        .value_kind:     by_value
      - .offset:         108
        .size:           4
        .value_kind:     by_value
      - .offset:         112
        .size:           4
        .value_kind:     by_value
      - .offset:         116
        .size:           1
        .value_kind:     by_value
    .group_segment_fixed_size: 512
    .kernarg_segment_align: 8
    .kernarg_segment_size: 120
    .language:       OpenCL C
    .language_version:
      - 2
      - 0
    .max_flat_workgroup_size: 1024
    .name:           _ZN9rocsparseL12csrsv_kernelILj1024ELj32ELb0Ell21rocsparse_complex_numIdEEEvT3_NS_24const_host_device_scalarIT4_EEPKT2_PKS3_PKS5_SD_lPS5_PiSB_iPS3_21rocsparse_index_base_20rocsparse_fill_mode_20rocsparse_diag_type_b
    .private_segment_fixed_size: 16
    .sgpr_count:     36
    .sgpr_spill_count: 0
    .symbol:         _ZN9rocsparseL12csrsv_kernelILj1024ELj32ELb0Ell21rocsparse_complex_numIdEEEvT3_NS_24const_host_device_scalarIT4_EEPKT2_PKS3_PKS5_SD_lPS5_PiSB_iPS3_21rocsparse_index_base_20rocsparse_fill_mode_20rocsparse_diag_type_b.kd
    .uniform_work_group_size: 1
    .uses_dynamic_stack: false
    .vgpr_count:     24
    .vgpr_spill_count: 0
    .wavefront_size: 32
    .workgroup_processor_mode: 1
  - .args:
      - .offset:         0
        .size:           8
        .value_kind:     by_value
      - .offset:         8
        .size:           16
        .value_kind:     by_value
      - .actual_access:  read_only
        .address_space:  global
        .offset:         24
        .size:           8
        .value_kind:     global_buffer
      - .actual_access:  read_only
        .address_space:  global
        .offset:         32
        .size:           8
        .value_kind:     global_buffer
      - .actual_access:  read_only
        .address_space:  global
        .offset:         40
        .size:           8
        .value_kind:     global_buffer
      - .actual_access:  read_only
        .address_space:  global
        .offset:         48
        .size:           8
        .value_kind:     global_buffer
      - .offset:         56
        .size:           8
        .value_kind:     by_value
      - .address_space:  global
        .offset:         64
        .size:           8
        .value_kind:     global_buffer
      - .address_space:  global
        .offset:         72
        .size:           8
        .value_kind:     global_buffer
      - .actual_access:  read_only
        .address_space:  global
        .offset:         80
        .size:           8
        .value_kind:     global_buffer
      - .offset:         88
        .size:           4
        .value_kind:     by_value
      - .address_space:  global
        .offset:         96
        .size:           8
        .value_kind:     global_buffer
      - .offset:         104
        .size:           4
        .value_kind:     by_value
      - .offset:         108
        .size:           4
        .value_kind:     by_value
      - .offset:         112
        .size:           4
        .value_kind:     by_value
      - .offset:         116
        .size:           1
        .value_kind:     by_value
    .group_segment_fixed_size: 256
    .kernarg_segment_align: 8
    .kernarg_segment_size: 120
    .language:       OpenCL C
    .language_version:
      - 2
      - 0
    .max_flat_workgroup_size: 1024
    .name:           _ZN9rocsparseL12csrsv_kernelILj1024ELj64ELb0Ell21rocsparse_complex_numIdEEEvT3_NS_24const_host_device_scalarIT4_EEPKT2_PKS3_PKS5_SD_lPS5_PiSB_iPS3_21rocsparse_index_base_20rocsparse_fill_mode_20rocsparse_diag_type_b
    .private_segment_fixed_size: 16
    .sgpr_count:     36
    .sgpr_spill_count: 0
    .symbol:         _ZN9rocsparseL12csrsv_kernelILj1024ELj64ELb0Ell21rocsparse_complex_numIdEEEvT3_NS_24const_host_device_scalarIT4_EEPKT2_PKS3_PKS5_SD_lPS5_PiSB_iPS3_21rocsparse_index_base_20rocsparse_fill_mode_20rocsparse_diag_type_b.kd
    .uniform_work_group_size: 1
    .uses_dynamic_stack: false
    .vgpr_count:     24
    .vgpr_spill_count: 0
    .wavefront_size: 32
    .workgroup_processor_mode: 1
  - .args:
      - .offset:         0
        .size:           8
        .value_kind:     by_value
      - .offset:         8
        .size:           8
        .value_kind:     by_value
      - .actual_access:  read_only
        .address_space:  global
        .offset:         16
        .size:           8
        .value_kind:     global_buffer
      - .actual_access:  read_only
        .address_space:  global
        .offset:         24
        .size:           8
        .value_kind:     global_buffer
      - .actual_access:  read_only
        .address_space:  global
        .offset:         32
        .size:           8
        .value_kind:     global_buffer
      - .actual_access:  read_only
        .address_space:  global
        .offset:         40
        .size:           8
        .value_kind:     global_buffer
      - .offset:         48
        .size:           8
        .value_kind:     by_value
      - .address_space:  global
        .offset:         56
        .size:           8
        .value_kind:     global_buffer
      - .address_space:  global
        .offset:         64
        .size:           8
        .value_kind:     global_buffer
      - .actual_access:  read_only
        .address_space:  global
        .offset:         72
        .size:           8
        .value_kind:     global_buffer
      - .offset:         80
        .size:           4
        .value_kind:     by_value
      - .address_space:  global
        .offset:         88
        .size:           8
        .value_kind:     global_buffer
      - .offset:         96
        .size:           4
        .value_kind:     by_value
      - .offset:         100
        .size:           4
        .value_kind:     by_value
      - .offset:         104
        .size:           4
        .value_kind:     by_value
      - .offset:         108
        .size:           1
        .value_kind:     by_value
    .group_segment_fixed_size: 64
    .kernarg_segment_align: 8
    .kernarg_segment_size: 112
    .language:       OpenCL C
    .language_version:
      - 2
      - 0
    .max_flat_workgroup_size: 1024
    .name:           _ZN9rocsparseL12csrsv_kernelILj1024ELj64ELb1EilfEEvT3_NS_24const_host_device_scalarIT4_EEPKT2_PKS1_PKS3_SB_lPS3_PiS9_iPS1_21rocsparse_index_base_20rocsparse_fill_mode_20rocsparse_diag_type_b
    .private_segment_fixed_size: 0
    .sgpr_count:     33
    .sgpr_spill_count: 0
    .symbol:         _ZN9rocsparseL12csrsv_kernelILj1024ELj64ELb1EilfEEvT3_NS_24const_host_device_scalarIT4_EEPKT2_PKS1_PKS3_SB_lPS3_PiS9_iPS1_21rocsparse_index_base_20rocsparse_fill_mode_20rocsparse_diag_type_b.kd
    .uniform_work_group_size: 1
    .uses_dynamic_stack: false
    .vgpr_count:     12
    .vgpr_spill_count: 0
    .wavefront_size: 32
    .workgroup_processor_mode: 1
  - .args:
      - .offset:         0
        .size:           8
        .value_kind:     by_value
      - .offset:         8
        .size:           8
        .value_kind:     by_value
      - .actual_access:  read_only
        .address_space:  global
        .offset:         16
        .size:           8
        .value_kind:     global_buffer
      - .actual_access:  read_only
        .address_space:  global
        .offset:         24
        .size:           8
        .value_kind:     global_buffer
      - .actual_access:  read_only
        .address_space:  global
        .offset:         32
        .size:           8
        .value_kind:     global_buffer
      - .actual_access:  read_only
        .address_space:  global
        .offset:         40
        .size:           8
        .value_kind:     global_buffer
      - .offset:         48
        .size:           8
        .value_kind:     by_value
      - .address_space:  global
        .offset:         56
        .size:           8
        .value_kind:     global_buffer
      - .address_space:  global
        .offset:         64
        .size:           8
        .value_kind:     global_buffer
      - .actual_access:  read_only
        .address_space:  global
        .offset:         72
        .size:           8
        .value_kind:     global_buffer
      - .offset:         80
        .size:           4
        .value_kind:     by_value
      - .address_space:  global
        .offset:         88
        .size:           8
        .value_kind:     global_buffer
      - .offset:         96
        .size:           4
        .value_kind:     by_value
      - .offset:         100
        .size:           4
        .value_kind:     by_value
      - .offset:         104
        .size:           4
        .value_kind:     by_value
      - .offset:         108
        .size:           1
        .value_kind:     by_value
    .group_segment_fixed_size: 128
    .kernarg_segment_align: 8
    .kernarg_segment_size: 112
    .language:       OpenCL C
    .language_version:
      - 2
      - 0
    .max_flat_workgroup_size: 1024
    .name:           _ZN9rocsparseL12csrsv_kernelILj1024ELj32ELb0EilfEEvT3_NS_24const_host_device_scalarIT4_EEPKT2_PKS1_PKS3_SB_lPS3_PiS9_iPS1_21rocsparse_index_base_20rocsparse_fill_mode_20rocsparse_diag_type_b
    .private_segment_fixed_size: 0
    .sgpr_count:     32
    .sgpr_spill_count: 0
    .symbol:         _ZN9rocsparseL12csrsv_kernelILj1024ELj32ELb0EilfEEvT3_NS_24const_host_device_scalarIT4_EEPKT2_PKS1_PKS3_SB_lPS3_PiS9_iPS1_21rocsparse_index_base_20rocsparse_fill_mode_20rocsparse_diag_type_b.kd
    .uniform_work_group_size: 1
    .uses_dynamic_stack: false
    .vgpr_count:     12
    .vgpr_spill_count: 0
    .wavefront_size: 32
    .workgroup_processor_mode: 1
  - .args:
      - .offset:         0
        .size:           8
        .value_kind:     by_value
      - .offset:         8
        .size:           8
        .value_kind:     by_value
      - .actual_access:  read_only
        .address_space:  global
        .offset:         16
        .size:           8
        .value_kind:     global_buffer
      - .actual_access:  read_only
        .address_space:  global
        .offset:         24
        .size:           8
        .value_kind:     global_buffer
      - .actual_access:  read_only
        .address_space:  global
        .offset:         32
        .size:           8
        .value_kind:     global_buffer
      - .actual_access:  read_only
        .address_space:  global
        .offset:         40
        .size:           8
        .value_kind:     global_buffer
      - .offset:         48
        .size:           8
        .value_kind:     by_value
      - .address_space:  global
        .offset:         56
        .size:           8
        .value_kind:     global_buffer
      - .address_space:  global
        .offset:         64
        .size:           8
        .value_kind:     global_buffer
      - .actual_access:  read_only
        .address_space:  global
        .offset:         72
        .size:           8
        .value_kind:     global_buffer
      - .offset:         80
        .size:           4
        .value_kind:     by_value
      - .address_space:  global
        .offset:         88
        .size:           8
        .value_kind:     global_buffer
      - .offset:         96
        .size:           4
        .value_kind:     by_value
      - .offset:         100
        .size:           4
        .value_kind:     by_value
      - .offset:         104
        .size:           4
        .value_kind:     by_value
      - .offset:         108
        .size:           1
        .value_kind:     by_value
    .group_segment_fixed_size: 64
    .kernarg_segment_align: 8
    .kernarg_segment_size: 112
    .language:       OpenCL C
    .language_version:
      - 2
      - 0
    .max_flat_workgroup_size: 1024
    .name:           _ZN9rocsparseL12csrsv_kernelILj1024ELj64ELb0EilfEEvT3_NS_24const_host_device_scalarIT4_EEPKT2_PKS1_PKS3_SB_lPS3_PiS9_iPS1_21rocsparse_index_base_20rocsparse_fill_mode_20rocsparse_diag_type_b
    .private_segment_fixed_size: 0
    .sgpr_count:     32
    .sgpr_spill_count: 0
    .symbol:         _ZN9rocsparseL12csrsv_kernelILj1024ELj64ELb0EilfEEvT3_NS_24const_host_device_scalarIT4_EEPKT2_PKS1_PKS3_SB_lPS3_PiS9_iPS1_21rocsparse_index_base_20rocsparse_fill_mode_20rocsparse_diag_type_b.kd
    .uniform_work_group_size: 1
    .uses_dynamic_stack: false
    .vgpr_count:     12
    .vgpr_spill_count: 0
    .wavefront_size: 32
    .workgroup_processor_mode: 1
  - .args:
      - .offset:         0
        .size:           8
        .value_kind:     by_value
      - .offset:         8
        .size:           8
        .value_kind:     by_value
      - .actual_access:  read_only
        .address_space:  global
        .offset:         16
        .size:           8
        .value_kind:     global_buffer
      - .actual_access:  read_only
        .address_space:  global
        .offset:         24
        .size:           8
        .value_kind:     global_buffer
      - .actual_access:  read_only
        .address_space:  global
        .offset:         32
        .size:           8
        .value_kind:     global_buffer
      - .actual_access:  read_only
        .address_space:  global
        .offset:         40
        .size:           8
        .value_kind:     global_buffer
      - .offset:         48
        .size:           8
        .value_kind:     by_value
      - .address_space:  global
        .offset:         56
        .size:           8
        .value_kind:     global_buffer
      - .address_space:  global
        .offset:         64
        .size:           8
        .value_kind:     global_buffer
      - .actual_access:  read_only
        .address_space:  global
        .offset:         72
        .size:           8
        .value_kind:     global_buffer
      - .offset:         80
        .size:           4
        .value_kind:     by_value
      - .address_space:  global
        .offset:         88
        .size:           8
        .value_kind:     global_buffer
      - .offset:         96
        .size:           4
        .value_kind:     by_value
      - .offset:         100
        .size:           4
        .value_kind:     by_value
      - .offset:         104
        .size:           4
        .value_kind:     by_value
      - .offset:         108
        .size:           1
        .value_kind:     by_value
    .group_segment_fixed_size: 128
    .kernarg_segment_align: 8
    .kernarg_segment_size: 112
    .language:       OpenCL C
    .language_version:
      - 2
      - 0
    .max_flat_workgroup_size: 1024
    .name:           _ZN9rocsparseL12csrsv_kernelILj1024ELj64ELb1EildEEvT3_NS_24const_host_device_scalarIT4_EEPKT2_PKS1_PKS3_SB_lPS3_PiS9_iPS1_21rocsparse_index_base_20rocsparse_fill_mode_20rocsparse_diag_type_b
    .private_segment_fixed_size: 0
    .sgpr_count:     33
    .sgpr_spill_count: 0
    .symbol:         _ZN9rocsparseL12csrsv_kernelILj1024ELj64ELb1EildEEvT3_NS_24const_host_device_scalarIT4_EEPKT2_PKS1_PKS3_SB_lPS3_PiS9_iPS1_21rocsparse_index_base_20rocsparse_fill_mode_20rocsparse_diag_type_b.kd
    .uniform_work_group_size: 1
    .uses_dynamic_stack: false
    .vgpr_count:     17
    .vgpr_spill_count: 0
    .wavefront_size: 32
    .workgroup_processor_mode: 1
  - .args:
      - .offset:         0
        .size:           8
        .value_kind:     by_value
      - .offset:         8
        .size:           8
        .value_kind:     by_value
      - .actual_access:  read_only
        .address_space:  global
        .offset:         16
        .size:           8
        .value_kind:     global_buffer
      - .actual_access:  read_only
        .address_space:  global
        .offset:         24
        .size:           8
        .value_kind:     global_buffer
      - .actual_access:  read_only
        .address_space:  global
        .offset:         32
        .size:           8
        .value_kind:     global_buffer
      - .actual_access:  read_only
        .address_space:  global
        .offset:         40
        .size:           8
        .value_kind:     global_buffer
      - .offset:         48
        .size:           8
        .value_kind:     by_value
      - .address_space:  global
        .offset:         56
        .size:           8
        .value_kind:     global_buffer
      - .address_space:  global
        .offset:         64
        .size:           8
        .value_kind:     global_buffer
      - .actual_access:  read_only
        .address_space:  global
        .offset:         72
        .size:           8
        .value_kind:     global_buffer
      - .offset:         80
        .size:           4
        .value_kind:     by_value
      - .address_space:  global
        .offset:         88
        .size:           8
        .value_kind:     global_buffer
      - .offset:         96
        .size:           4
        .value_kind:     by_value
      - .offset:         100
        .size:           4
        .value_kind:     by_value
      - .offset:         104
        .size:           4
        .value_kind:     by_value
      - .offset:         108
        .size:           1
        .value_kind:     by_value
    .group_segment_fixed_size: 256
    .kernarg_segment_align: 8
    .kernarg_segment_size: 112
    .language:       OpenCL C
    .language_version:
      - 2
      - 0
    .max_flat_workgroup_size: 1024
    .name:           _ZN9rocsparseL12csrsv_kernelILj1024ELj32ELb0EildEEvT3_NS_24const_host_device_scalarIT4_EEPKT2_PKS1_PKS3_SB_lPS3_PiS9_iPS1_21rocsparse_index_base_20rocsparse_fill_mode_20rocsparse_diag_type_b
    .private_segment_fixed_size: 0
    .sgpr_count:     32
    .sgpr_spill_count: 0
    .symbol:         _ZN9rocsparseL12csrsv_kernelILj1024ELj32ELb0EildEEvT3_NS_24const_host_device_scalarIT4_EEPKT2_PKS1_PKS3_SB_lPS3_PiS9_iPS1_21rocsparse_index_base_20rocsparse_fill_mode_20rocsparse_diag_type_b.kd
    .uniform_work_group_size: 1
    .uses_dynamic_stack: false
    .vgpr_count:     17
    .vgpr_spill_count: 0
    .wavefront_size: 32
    .workgroup_processor_mode: 1
  - .args:
      - .offset:         0
        .size:           8
        .value_kind:     by_value
      - .offset:         8
        .size:           8
        .value_kind:     by_value
      - .actual_access:  read_only
        .address_space:  global
        .offset:         16
        .size:           8
        .value_kind:     global_buffer
      - .actual_access:  read_only
        .address_space:  global
        .offset:         24
        .size:           8
        .value_kind:     global_buffer
      - .actual_access:  read_only
        .address_space:  global
        .offset:         32
        .size:           8
        .value_kind:     global_buffer
      - .actual_access:  read_only
        .address_space:  global
        .offset:         40
        .size:           8
        .value_kind:     global_buffer
      - .offset:         48
        .size:           8
        .value_kind:     by_value
      - .address_space:  global
        .offset:         56
        .size:           8
        .value_kind:     global_buffer
      - .address_space:  global
        .offset:         64
        .size:           8
        .value_kind:     global_buffer
      - .actual_access:  read_only
        .address_space:  global
        .offset:         72
        .size:           8
        .value_kind:     global_buffer
      - .offset:         80
        .size:           4
        .value_kind:     by_value
      - .address_space:  global
        .offset:         88
        .size:           8
        .value_kind:     global_buffer
      - .offset:         96
        .size:           4
        .value_kind:     by_value
      - .offset:         100
        .size:           4
        .value_kind:     by_value
      - .offset:         104
        .size:           4
        .value_kind:     by_value
      - .offset:         108
        .size:           1
        .value_kind:     by_value
    .group_segment_fixed_size: 128
    .kernarg_segment_align: 8
    .kernarg_segment_size: 112
    .language:       OpenCL C
    .language_version:
      - 2
      - 0
    .max_flat_workgroup_size: 1024
    .name:           _ZN9rocsparseL12csrsv_kernelILj1024ELj64ELb0EildEEvT3_NS_24const_host_device_scalarIT4_EEPKT2_PKS1_PKS3_SB_lPS3_PiS9_iPS1_21rocsparse_index_base_20rocsparse_fill_mode_20rocsparse_diag_type_b
    .private_segment_fixed_size: 0
    .sgpr_count:     32
    .sgpr_spill_count: 0
    .symbol:         _ZN9rocsparseL12csrsv_kernelILj1024ELj64ELb0EildEEvT3_NS_24const_host_device_scalarIT4_EEPKT2_PKS1_PKS3_SB_lPS3_PiS9_iPS1_21rocsparse_index_base_20rocsparse_fill_mode_20rocsparse_diag_type_b.kd
    .uniform_work_group_size: 1
    .uses_dynamic_stack: false
    .vgpr_count:     17
    .vgpr_spill_count: 0
    .wavefront_size: 32
    .workgroup_processor_mode: 1
  - .args:
      - .offset:         0
        .size:           8
        .value_kind:     by_value
      - .offset:         8
        .size:           8
        .value_kind:     by_value
      - .actual_access:  read_only
        .address_space:  global
        .offset:         16
        .size:           8
        .value_kind:     global_buffer
      - .actual_access:  read_only
        .address_space:  global
        .offset:         24
        .size:           8
        .value_kind:     global_buffer
      - .actual_access:  read_only
        .address_space:  global
        .offset:         32
        .size:           8
        .value_kind:     global_buffer
      - .actual_access:  read_only
        .address_space:  global
        .offset:         40
        .size:           8
        .value_kind:     global_buffer
      - .offset:         48
        .size:           8
        .value_kind:     by_value
      - .address_space:  global
        .offset:         56
        .size:           8
        .value_kind:     global_buffer
      - .address_space:  global
        .offset:         64
        .size:           8
        .value_kind:     global_buffer
      - .actual_access:  read_only
        .address_space:  global
        .offset:         72
        .size:           8
        .value_kind:     global_buffer
      - .offset:         80
        .size:           4
        .value_kind:     by_value
      - .address_space:  global
        .offset:         88
        .size:           8
        .value_kind:     global_buffer
      - .offset:         96
        .size:           4
        .value_kind:     by_value
      - .offset:         100
        .size:           4
        .value_kind:     by_value
      - .offset:         104
        .size:           4
        .value_kind:     by_value
      - .offset:         108
        .size:           1
        .value_kind:     by_value
    .group_segment_fixed_size: 128
    .kernarg_segment_align: 8
    .kernarg_segment_size: 112
    .language:       OpenCL C
    .language_version:
      - 2
      - 0
    .max_flat_workgroup_size: 1024
    .name:           _ZN9rocsparseL12csrsv_kernelILj1024ELj64ELb1Eil21rocsparse_complex_numIfEEEvT3_NS_24const_host_device_scalarIT4_EEPKT2_PKS3_PKS5_SD_lPS5_PiSB_iPS3_21rocsparse_index_base_20rocsparse_fill_mode_20rocsparse_diag_type_b
    .private_segment_fixed_size: 0
    .sgpr_count:     33
    .sgpr_spill_count: 0
    .symbol:         _ZN9rocsparseL12csrsv_kernelILj1024ELj64ELb1Eil21rocsparse_complex_numIfEEEvT3_NS_24const_host_device_scalarIT4_EEPKT2_PKS3_PKS5_SD_lPS5_PiSB_iPS3_21rocsparse_index_base_20rocsparse_fill_mode_20rocsparse_diag_type_b.kd
    .uniform_work_group_size: 1
    .uses_dynamic_stack: false
    .vgpr_count:     15
    .vgpr_spill_count: 0
    .wavefront_size: 32
    .workgroup_processor_mode: 1
  - .args:
      - .offset:         0
        .size:           8
        .value_kind:     by_value
      - .offset:         8
        .size:           8
        .value_kind:     by_value
      - .actual_access:  read_only
        .address_space:  global
        .offset:         16
        .size:           8
        .value_kind:     global_buffer
      - .actual_access:  read_only
        .address_space:  global
        .offset:         24
        .size:           8
        .value_kind:     global_buffer
      - .actual_access:  read_only
        .address_space:  global
        .offset:         32
        .size:           8
        .value_kind:     global_buffer
      - .actual_access:  read_only
        .address_space:  global
        .offset:         40
        .size:           8
        .value_kind:     global_buffer
      - .offset:         48
        .size:           8
        .value_kind:     by_value
      - .address_space:  global
        .offset:         56
        .size:           8
        .value_kind:     global_buffer
      - .address_space:  global
        .offset:         64
        .size:           8
        .value_kind:     global_buffer
      - .actual_access:  read_only
        .address_space:  global
        .offset:         72
        .size:           8
        .value_kind:     global_buffer
      - .offset:         80
        .size:           4
        .value_kind:     by_value
      - .address_space:  global
        .offset:         88
        .size:           8
        .value_kind:     global_buffer
      - .offset:         96
        .size:           4
        .value_kind:     by_value
      - .offset:         100
        .size:           4
        .value_kind:     by_value
      - .offset:         104
        .size:           4
        .value_kind:     by_value
      - .offset:         108
        .size:           1
        .value_kind:     by_value
    .group_segment_fixed_size: 256
    .kernarg_segment_align: 8
    .kernarg_segment_size: 112
    .language:       OpenCL C
    .language_version:
      - 2
      - 0
    .max_flat_workgroup_size: 1024
    .name:           _ZN9rocsparseL12csrsv_kernelILj1024ELj32ELb0Eil21rocsparse_complex_numIfEEEvT3_NS_24const_host_device_scalarIT4_EEPKT2_PKS3_PKS5_SD_lPS5_PiSB_iPS3_21rocsparse_index_base_20rocsparse_fill_mode_20rocsparse_diag_type_b
    .private_segment_fixed_size: 0
    .sgpr_count:     32
    .sgpr_spill_count: 0
    .symbol:         _ZN9rocsparseL12csrsv_kernelILj1024ELj32ELb0Eil21rocsparse_complex_numIfEEEvT3_NS_24const_host_device_scalarIT4_EEPKT2_PKS3_PKS5_SD_lPS5_PiSB_iPS3_21rocsparse_index_base_20rocsparse_fill_mode_20rocsparse_diag_type_b.kd
    .uniform_work_group_size: 1
    .uses_dynamic_stack: false
    .vgpr_count:     15
    .vgpr_spill_count: 0
    .wavefront_size: 32
    .workgroup_processor_mode: 1
  - .args:
      - .offset:         0
        .size:           8
        .value_kind:     by_value
      - .offset:         8
        .size:           8
        .value_kind:     by_value
      - .actual_access:  read_only
        .address_space:  global
        .offset:         16
        .size:           8
        .value_kind:     global_buffer
      - .actual_access:  read_only
        .address_space:  global
        .offset:         24
        .size:           8
        .value_kind:     global_buffer
      - .actual_access:  read_only
        .address_space:  global
        .offset:         32
        .size:           8
        .value_kind:     global_buffer
      - .actual_access:  read_only
        .address_space:  global
        .offset:         40
        .size:           8
        .value_kind:     global_buffer
      - .offset:         48
        .size:           8
        .value_kind:     by_value
      - .address_space:  global
        .offset:         56
        .size:           8
        .value_kind:     global_buffer
      - .address_space:  global
        .offset:         64
        .size:           8
        .value_kind:     global_buffer
      - .actual_access:  read_only
        .address_space:  global
        .offset:         72
        .size:           8
        .value_kind:     global_buffer
      - .offset:         80
        .size:           4
        .value_kind:     by_value
      - .address_space:  global
        .offset:         88
        .size:           8
        .value_kind:     global_buffer
      - .offset:         96
        .size:           4
        .value_kind:     by_value
      - .offset:         100
        .size:           4
        .value_kind:     by_value
      - .offset:         104
        .size:           4
        .value_kind:     by_value
      - .offset:         108
        .size:           1
        .value_kind:     by_value
    .group_segment_fixed_size: 128
    .kernarg_segment_align: 8
    .kernarg_segment_size: 112
    .language:       OpenCL C
    .language_version:
      - 2
      - 0
    .max_flat_workgroup_size: 1024
    .name:           _ZN9rocsparseL12csrsv_kernelILj1024ELj64ELb0Eil21rocsparse_complex_numIfEEEvT3_NS_24const_host_device_scalarIT4_EEPKT2_PKS3_PKS5_SD_lPS5_PiSB_iPS3_21rocsparse_index_base_20rocsparse_fill_mode_20rocsparse_diag_type_b
    .private_segment_fixed_size: 0
    .sgpr_count:     32
    .sgpr_spill_count: 0
    .symbol:         _ZN9rocsparseL12csrsv_kernelILj1024ELj64ELb0Eil21rocsparse_complex_numIfEEEvT3_NS_24const_host_device_scalarIT4_EEPKT2_PKS3_PKS5_SD_lPS5_PiSB_iPS3_21rocsparse_index_base_20rocsparse_fill_mode_20rocsparse_diag_type_b.kd
    .uniform_work_group_size: 1
    .uses_dynamic_stack: false
    .vgpr_count:     15
    .vgpr_spill_count: 0
    .wavefront_size: 32
    .workgroup_processor_mode: 1
  - .args:
      - .offset:         0
        .size:           8
        .value_kind:     by_value
      - .offset:         8
        .size:           16
        .value_kind:     by_value
      - .actual_access:  read_only
        .address_space:  global
        .offset:         24
        .size:           8
        .value_kind:     global_buffer
      - .actual_access:  read_only
        .address_space:  global
        .offset:         32
        .size:           8
        .value_kind:     global_buffer
      - .actual_access:  read_only
        .address_space:  global
        .offset:         40
        .size:           8
        .value_kind:     global_buffer
      - .actual_access:  read_only
        .address_space:  global
        .offset:         48
        .size:           8
        .value_kind:     global_buffer
      - .offset:         56
        .size:           8
        .value_kind:     by_value
      - .address_space:  global
        .offset:         64
        .size:           8
        .value_kind:     global_buffer
      - .address_space:  global
        .offset:         72
        .size:           8
        .value_kind:     global_buffer
      - .actual_access:  read_only
        .address_space:  global
        .offset:         80
        .size:           8
        .value_kind:     global_buffer
      - .offset:         88
        .size:           4
        .value_kind:     by_value
      - .address_space:  global
        .offset:         96
        .size:           8
        .value_kind:     global_buffer
      - .offset:         104
        .size:           4
        .value_kind:     by_value
      - .offset:         108
        .size:           4
        .value_kind:     by_value
      - .offset:         112
        .size:           4
        .value_kind:     by_value
      - .offset:         116
        .size:           1
        .value_kind:     by_value
    .group_segment_fixed_size: 256
    .kernarg_segment_align: 8
    .kernarg_segment_size: 120
    .language:       OpenCL C
    .language_version:
      - 2
      - 0
    .max_flat_workgroup_size: 1024
    .name:           _ZN9rocsparseL12csrsv_kernelILj1024ELj64ELb1Eil21rocsparse_complex_numIdEEEvT3_NS_24const_host_device_scalarIT4_EEPKT2_PKS3_PKS5_SD_lPS5_PiSB_iPS3_21rocsparse_index_base_20rocsparse_fill_mode_20rocsparse_diag_type_b
    .private_segment_fixed_size: 16
    .sgpr_count:     38
    .sgpr_spill_count: 0
    .symbol:         _ZN9rocsparseL12csrsv_kernelILj1024ELj64ELb1Eil21rocsparse_complex_numIdEEEvT3_NS_24const_host_device_scalarIT4_EEPKT2_PKS3_PKS5_SD_lPS5_PiSB_iPS3_21rocsparse_index_base_20rocsparse_fill_mode_20rocsparse_diag_type_b.kd
    .uniform_work_group_size: 1
    .uses_dynamic_stack: false
    .vgpr_count:     23
    .vgpr_spill_count: 0
    .wavefront_size: 32
    .workgroup_processor_mode: 1
  - .args:
      - .offset:         0
        .size:           8
        .value_kind:     by_value
      - .offset:         8
        .size:           16
        .value_kind:     by_value
      - .actual_access:  read_only
        .address_space:  global
        .offset:         24
        .size:           8
        .value_kind:     global_buffer
      - .actual_access:  read_only
        .address_space:  global
        .offset:         32
        .size:           8
        .value_kind:     global_buffer
      - .actual_access:  read_only
        .address_space:  global
        .offset:         40
        .size:           8
        .value_kind:     global_buffer
      - .actual_access:  read_only
        .address_space:  global
        .offset:         48
        .size:           8
        .value_kind:     global_buffer
      - .offset:         56
        .size:           8
        .value_kind:     by_value
      - .address_space:  global
        .offset:         64
        .size:           8
        .value_kind:     global_buffer
      - .address_space:  global
        .offset:         72
        .size:           8
        .value_kind:     global_buffer
      - .actual_access:  read_only
        .address_space:  global
        .offset:         80
        .size:           8
        .value_kind:     global_buffer
      - .offset:         88
        .size:           4
        .value_kind:     by_value
      - .address_space:  global
        .offset:         96
        .size:           8
        .value_kind:     global_buffer
      - .offset:         104
        .size:           4
        .value_kind:     by_value
      - .offset:         108
        .size:           4
        .value_kind:     by_value
      - .offset:         112
        .size:           4
        .value_kind:     by_value
      - .offset:         116
        .size:           1
        .value_kind:     by_value
    .group_segment_fixed_size: 512
    .kernarg_segment_align: 8
    .kernarg_segment_size: 120
    .language:       OpenCL C
    .language_version:
      - 2
      - 0
    .max_flat_workgroup_size: 1024
    .name:           _ZN9rocsparseL12csrsv_kernelILj1024ELj32ELb0Eil21rocsparse_complex_numIdEEEvT3_NS_24const_host_device_scalarIT4_EEPKT2_PKS3_PKS5_SD_lPS5_PiSB_iPS3_21rocsparse_index_base_20rocsparse_fill_mode_20rocsparse_diag_type_b
    .private_segment_fixed_size: 16
    .sgpr_count:     37
    .sgpr_spill_count: 0
    .symbol:         _ZN9rocsparseL12csrsv_kernelILj1024ELj32ELb0Eil21rocsparse_complex_numIdEEEvT3_NS_24const_host_device_scalarIT4_EEPKT2_PKS3_PKS5_SD_lPS5_PiSB_iPS3_21rocsparse_index_base_20rocsparse_fill_mode_20rocsparse_diag_type_b.kd
    .uniform_work_group_size: 1
    .uses_dynamic_stack: false
    .vgpr_count:     23
    .vgpr_spill_count: 0
    .wavefront_size: 32
    .workgroup_processor_mode: 1
  - .args:
      - .offset:         0
        .size:           8
        .value_kind:     by_value
      - .offset:         8
        .size:           16
        .value_kind:     by_value
      - .actual_access:  read_only
        .address_space:  global
        .offset:         24
        .size:           8
        .value_kind:     global_buffer
      - .actual_access:  read_only
        .address_space:  global
        .offset:         32
        .size:           8
        .value_kind:     global_buffer
      - .actual_access:  read_only
        .address_space:  global
        .offset:         40
        .size:           8
        .value_kind:     global_buffer
      - .actual_access:  read_only
        .address_space:  global
        .offset:         48
        .size:           8
        .value_kind:     global_buffer
      - .offset:         56
        .size:           8
        .value_kind:     by_value
      - .address_space:  global
        .offset:         64
        .size:           8
        .value_kind:     global_buffer
      - .address_space:  global
        .offset:         72
        .size:           8
        .value_kind:     global_buffer
      - .actual_access:  read_only
        .address_space:  global
        .offset:         80
        .size:           8
        .value_kind:     global_buffer
      - .offset:         88
        .size:           4
        .value_kind:     by_value
      - .address_space:  global
        .offset:         96
        .size:           8
        .value_kind:     global_buffer
      - .offset:         104
        .size:           4
        .value_kind:     by_value
      - .offset:         108
        .size:           4
        .value_kind:     by_value
      - .offset:         112
        .size:           4
        .value_kind:     by_value
      - .offset:         116
        .size:           1
        .value_kind:     by_value
    .group_segment_fixed_size: 256
    .kernarg_segment_align: 8
    .kernarg_segment_size: 120
    .language:       OpenCL C
    .language_version:
      - 2
      - 0
    .max_flat_workgroup_size: 1024
    .name:           _ZN9rocsparseL12csrsv_kernelILj1024ELj64ELb0Eil21rocsparse_complex_numIdEEEvT3_NS_24const_host_device_scalarIT4_EEPKT2_PKS3_PKS5_SD_lPS5_PiSB_iPS3_21rocsparse_index_base_20rocsparse_fill_mode_20rocsparse_diag_type_b
    .private_segment_fixed_size: 16
    .sgpr_count:     37
    .sgpr_spill_count: 0
    .symbol:         _ZN9rocsparseL12csrsv_kernelILj1024ELj64ELb0Eil21rocsparse_complex_numIdEEEvT3_NS_24const_host_device_scalarIT4_EEPKT2_PKS3_PKS5_SD_lPS5_PiSB_iPS3_21rocsparse_index_base_20rocsparse_fill_mode_20rocsparse_diag_type_b.kd
    .uniform_work_group_size: 1
    .uses_dynamic_stack: false
    .vgpr_count:     23
    .vgpr_spill_count: 0
    .wavefront_size: 32
    .workgroup_processor_mode: 1
amdhsa.target:   amdgcn-amd-amdhsa--gfx1030
amdhsa.version:
  - 1
  - 2
...

	.end_amdgpu_metadata
